;; amdgpu-corpus repo=ROCm/rocSOLVER kind=compiled arch=gfx90a opt=O3
	.text
	.amdgcn_target "amdgcn-amd-amdhsa--gfx90a"
	.amdhsa_code_object_version 6
	.section	.text._ZN9rocsolver6v33100L22larf_left_kernel_smallILi64EfiPfEEvT1_S3_T2_lS3_lPKT0_lS4_lS3_l,"axG",@progbits,_ZN9rocsolver6v33100L22larf_left_kernel_smallILi64EfiPfEEvT1_S3_T2_lS3_lPKT0_lS4_lS3_l,comdat
	.globl	_ZN9rocsolver6v33100L22larf_left_kernel_smallILi64EfiPfEEvT1_S3_T2_lS3_lPKT0_lS4_lS3_l ; -- Begin function _ZN9rocsolver6v33100L22larf_left_kernel_smallILi64EfiPfEEvT1_S3_T2_lS3_lPKT0_lS4_lS3_l
	.p2align	8
	.type	_ZN9rocsolver6v33100L22larf_left_kernel_smallILi64EfiPfEEvT1_S3_T2_lS3_lPKT0_lS4_lS3_l,@function
_ZN9rocsolver6v33100L22larf_left_kernel_smallILi64EfiPfEEvT1_S3_T2_lS3_lPKT0_lS4_lS3_l: ; @_ZN9rocsolver6v33100L22larf_left_kernel_smallILi64EfiPfEEvT1_S3_T2_lS3_lPKT0_lS4_lS3_l
; %bb.0:
	s_load_dwordx2 s[16:17], s[4:5], 0x0
	s_load_dwordx8 s[8:15], s[4:5], 0x20
	s_load_dwordx2 s[18:19], s[4:5], 0x40
	s_ashr_i32 s26, s6, 31
	s_waitcnt lgkmcnt(0)
	v_cmp_gt_i32_e64 s[0:1], s16, v0
	v_xad_u32 v4, v0, -1, s16
	s_and_saveexec_b64 s[20:21], s[0:1]
	s_cbranch_execz .LBB0_17
; %bb.1:
	s_load_dwordx4 s[36:39], s[4:5], 0x8
	s_load_dword s28, s[4:5], 0x18
	s_mul_i32 s2, s6, s9
	s_mul_hi_u32 s3, s6, s8
	s_add_i32 s2, s3, s2
	s_mul_i32 s3, s26, s8
	s_add_i32 s3, s2, s3
	s_mul_i32 s2, s6, s8
	s_lshl_b64 s[2:3], s[2:3], 2
	s_waitcnt lgkmcnt(0)
	s_add_u32 s8, s36, s2
	s_addc_u32 s9, s37, s3
	s_lshl_b64 s[2:3], s[38:39], 2
	s_add_u32 s27, s8, s2
	s_addc_u32 s29, s9, s3
	s_sub_i32 s2, 1, s16
	s_mul_i32 s2, s2, s28
	s_cmp_lt_i32 s28, 1
	s_cselect_b32 s30, s2, 0
	s_movk_i32 s2, 0x5bf
	v_cmp_lt_u32_e32 vcc, s2, v4
	s_mov_b64 s[2:3], 0
                                        ; implicit-def: $vgpr1
                                        ; implicit-def: $sgpr31
	s_and_saveexec_b64 s[8:9], vcc
	s_xor_b64 s[22:23], exec, s[8:9]
	s_cbranch_execnz .LBB0_4
; %bb.2:
	s_or_saveexec_b64 s[8:9], s[22:23]
	v_mov_b32_e32 v5, s31
	s_xor_b64 exec, exec, s[8:9]
	s_cbranch_execnz .LBB0_14
.LBB0_3:
	s_or_b64 exec, exec, s[8:9]
	s_and_b64 exec, exec, s[2:3]
	s_cbranch_execnz .LBB0_15
	s_branch .LBB0_17
.LBB0_4:
	s_lshl_b32 s31, s28, 6
	s_sub_i32 s8, 0, s31
	s_cmp_lt_i32 s31, 0
	s_cselect_b64 vcc, -1, 0
	s_and_b64 s[2:3], vcc, exec
	v_lshrrev_b32_e32 v5, 6, v4
	s_cselect_b32 s8, s8, s31
	v_mul_lo_u32 v1, v0, s28
	v_mul_hi_u32 v2, s8, v5
	v_add_u32_e32 v1, s30, v1
	v_cmp_eq_u32_e64 s[2:3], 0, v2
	v_mul_lo_u32 v2, s8, v5
	v_add_u32_e32 v3, v1, v2
	v_sub_u32_e32 v2, v1, v2
	v_cmp_gt_i32_e64 s[8:9], v2, v1
	v_cndmask_b32_e64 v2, 0, 1, s[8:9]
	v_cmp_lt_i32_e64 s[8:9], v3, v1
	v_cndmask_b32_e64 v1, 0, 1, s[8:9]
	v_cndmask_b32_e32 v1, v1, v2, vcc
	v_and_b32_e32 v1, 1, v1
	v_cmp_eq_u32_e32 vcc, 1, v1
	s_xor_b64 s[24:25], vcc, -1
	s_mov_b64 s[8:9], -1
	s_and_b64 s[24:25], s[24:25], s[2:3]
	v_mov_b32_e32 v1, v0
	s_and_saveexec_b64 s[2:3], s[24:25]
	s_cbranch_execz .LBB0_13
; %bb.5:
	v_add_u32_e32 v2, -1, v5
	v_or_b32_e32 v1, 64, v0
	v_lshrrev_b32_e32 v3, 1, v2
	v_add_u32_e32 v6, 1, v3
	v_cmp_lt_u32_e32 vcc, 5, v2
	v_mov_b32_e32 v10, 0
	v_pk_mov_b32 v[2:3], v[0:1], v[0:1] op_sel:[0,1]
	s_and_saveexec_b64 s[8:9], vcc
	s_cbranch_execz .LBB0_9
; %bb.6:
	v_and_b32_e32 v7, -4, v6
	v_lshlrev_b32_e32 v8, 2, v0
	s_mov_b32 s33, 0
	s_mov_b64 s[24:25], 0
	v_mov_b32_e32 v9, s29
	v_pk_mov_b32 v[2:3], v[0:1], v[0:1] op_sel:[0,1]
.LBB0_7:                                ; =>This Inner Loop Header: Depth=1
	v_mul_lo_u32 v10, v2, s28
	v_add_u32_e32 v11, 0x80, v2
	v_add_u32_e32 v10, s30, v10
	v_mul_lo_u32 v1, v3, s28
	v_mul_lo_u32 v18, v11, s28
	v_ashrrev_i32_e32 v11, 31, v10
	v_add_u32_e32 v13, 0x80, v3
	v_add_u32_e32 v12, s30, v1
	v_lshlrev_b64 v[10:11], 2, v[10:11]
	v_add_u32_e32 v14, 0x100, v2
	v_add_u32_e32 v15, 0x100, v3
	v_mul_lo_u32 v1, v13, s28
	v_ashrrev_i32_e32 v13, 31, v12
	v_add_co_u32_e32 v10, vcc, s27, v10
	v_mul_lo_u32 v15, v15, s28
	v_mul_lo_u32 v19, v14, s28
	v_add_u32_e32 v14, s30, v18
	v_lshlrev_b64 v[12:13], 2, v[12:13]
	v_addc_co_u32_e32 v11, vcc, v9, v11, vcc
	v_add_u32_e32 v16, 0x180, v2
	v_add_u32_e32 v17, 0x180, v3
	;; [unrolled: 1-line block ×3, first 2 shown]
	v_ashrrev_i32_e32 v15, 31, v14
	v_add_co_u32_e32 v12, vcc, s27, v12
	v_mul_lo_u32 v17, v17, s28
	v_mul_lo_u32 v21, v16, s28
	v_add_u32_e32 v16, s30, v1
	v_addc_co_u32_e32 v13, vcc, v9, v13, vcc
	v_lshlrev_b64 v[14:15], 2, v[14:15]
	v_add_u32_e32 v24, s30, v17
	v_ashrrev_i32_e32 v17, 31, v16
	v_add_co_u32_e32 v14, vcc, s27, v14
	v_add_u32_e32 v18, s30, v19
	v_lshlrev_b64 v[16:17], 2, v[16:17]
	v_addc_co_u32_e32 v15, vcc, v9, v15, vcc
	v_ashrrev_i32_e32 v19, 31, v18
	v_add_co_u32_e32 v16, vcc, s27, v16
	v_lshlrev_b64 v[18:19], 2, v[18:19]
	v_addc_co_u32_e32 v17, vcc, v9, v17, vcc
	v_add_u32_e32 v22, s30, v21
	v_ashrrev_i32_e32 v21, 31, v20
	v_add_co_u32_e32 v18, vcc, s27, v18
	v_lshlrev_b64 v[20:21], 2, v[20:21]
	v_addc_co_u32_e32 v19, vcc, v9, v19, vcc
	v_ashrrev_i32_e32 v23, 31, v22
	v_add_co_u32_e32 v20, vcc, s27, v20
	v_lshlrev_b64 v[22:23], 2, v[22:23]
	v_addc_co_u32_e32 v21, vcc, v9, v21, vcc
	;; [unrolled: 4-line block ×3, first 2 shown]
	v_add_co_u32_e32 v24, vcc, s27, v24
	v_addc_co_u32_e32 v25, vcc, v9, v25, vcc
	global_load_dword v1, v[10:11], off
	global_load_dword v26, v[12:13], off
	;; [unrolled: 1-line block ×8, first 2 shown]
	v_add_u32_e32 v7, -4, v7
	s_add_i32 s33, s33, 8
	v_cmp_eq_u32_e32 vcc, 0, v7
	v_add_u32_e32 v3, 0x200, v3
	v_add_u32_e32 v2, 0x200, v2
	v_mov_b32_e32 v10, s33
	s_or_b64 s[24:25], vcc, s[24:25]
	s_waitcnt vmcnt(6)
	ds_write2st64_b32 v8, v1, v26 offset1:1
	s_waitcnt vmcnt(4)
	ds_write2st64_b32 v8, v27, v28 offset0:2 offset1:3
	s_waitcnt vmcnt(2)
	ds_write2st64_b32 v8, v29, v30 offset0:4 offset1:5
	;; [unrolled: 2-line block ×3, first 2 shown]
	v_add_u32_e32 v8, 0x800, v8
	s_andn2_b64 exec, exec, s[24:25]
	s_cbranch_execnz .LBB0_7
; %bb.8:
	s_or_b64 exec, exec, s[24:25]
.LBB0_9:
	s_or_b64 exec, exec, s[8:9]
	v_and_b32_e32 v1, 3, v6
	v_cmp_ne_u32_e32 vcc, 0, v1
	s_and_saveexec_b64 s[8:9], vcc
	s_cbranch_execz .LBB0_12
; %bb.10:
	v_lshlrev_b32_e32 v6, 2, v0
	v_lshl_or_b32 v6, v10, 8, v6
	s_mov_b64 s[24:25], 0
	v_mov_b32_e32 v7, s29
.LBB0_11:                               ; =>This Inner Loop Header: Depth=1
	v_mul_lo_u32 v8, v2, s28
	v_mul_lo_u32 v9, v3, s28
	v_add_u32_e32 v8, s30, v8
	v_add_u32_e32 v10, s30, v9
	v_ashrrev_i32_e32 v9, 31, v8
	v_lshlrev_b64 v[8:9], 2, v[8:9]
	v_ashrrev_i32_e32 v11, 31, v10
	v_add_co_u32_e32 v8, vcc, s27, v8
	v_lshlrev_b64 v[10:11], 2, v[10:11]
	v_addc_co_u32_e32 v9, vcc, v7, v9, vcc
	v_add_co_u32_e32 v10, vcc, s27, v10
	v_addc_co_u32_e32 v11, vcc, v7, v11, vcc
	global_load_dword v12, v[8:9], off
	global_load_dword v13, v[10:11], off
	v_add_u32_e32 v1, -1, v1
	v_cmp_eq_u32_e32 vcc, 0, v1
	v_add_u32_e32 v3, 0x80, v3
	v_add_u32_e32 v2, 0x80, v2
	s_or_b64 s[24:25], vcc, s[24:25]
	s_waitcnt vmcnt(0)
	ds_write2st64_b32 v6, v12, v13 offset1:1
	v_add_u32_e32 v6, 0x200, v6
	s_andn2_b64 exec, exec, s[24:25]
	s_cbranch_execnz .LBB0_11
.LBB0_12:
	s_or_b64 exec, exec, s[8:9]
	v_add_u32_e32 v2, 1, v5
	v_and_b32_e32 v3, 0x7fffffe, v2
	v_cmp_ne_u32_e32 vcc, v2, v3
	v_lshl_or_b32 v1, v3, 6, v0
	s_orn2_b64 s[8:9], vcc, exec
.LBB0_13:
	s_or_b64 exec, exec, s[2:3]
	s_and_b64 s[2:3], s[8:9], exec
	s_or_saveexec_b64 s[8:9], s[22:23]
	v_mov_b32_e32 v5, s31
	s_xor_b64 exec, exec, s[8:9]
	s_cbranch_execz .LBB0_3
.LBB0_14:
	s_lshl_b32 s22, s28, 6
	v_mov_b32_e32 v5, s22
	s_or_b64 s[2:3], s[2:3], exec
	v_mov_b32_e32 v1, v0
	s_or_b64 exec, exec, s[8:9]
	s_and_b64 exec, exec, s[2:3]
	s_cbranch_execz .LBB0_17
.LBB0_15:
	v_mul_lo_u32 v2, v1, s28
	v_add_u32_e32 v2, s30, v2
	v_lshlrev_b32_e32 v6, 2, v1
	s_mov_b64 s[2:3], 0
	v_mov_b32_e32 v7, s29
.LBB0_16:                               ; =>This Inner Loop Header: Depth=1
	v_ashrrev_i32_e32 v3, 31, v2
	v_lshlrev_b64 v[8:9], 2, v[2:3]
	v_add_co_u32_e32 v8, vcc, s27, v8
	v_addc_co_u32_e32 v9, vcc, v7, v9, vcc
	global_load_dword v3, v[8:9], off
	v_add_u32_e32 v1, 64, v1
	v_cmp_le_i32_e32 vcc, s16, v1
	v_add_u32_e32 v2, v2, v5
	s_or_b64 s[2:3], vcc, s[2:3]
	s_waitcnt vmcnt(0)
	ds_write_b32 v6, v3
	v_add_u32_e32 v6, 0x100, v6
	s_andn2_b64 exec, exec, s[2:3]
	s_cbranch_execnz .LBB0_16
.LBB0_17:
	s_or_b64 exec, exec, s[20:21]
	s_cmp_ge_i32 s7, s17
	s_waitcnt lgkmcnt(0)
	; wave barrier
	s_waitcnt lgkmcnt(0)
	s_cbranch_scc1 .LBB0_53
; %bb.18:
	s_load_dwordx2 s[2:3], s[4:5], 0x50
	s_load_dword s33, s[4:5], 0x48
	v_lshrrev_b32_e32 v1, 6, v4
	v_add_u32_e32 v2, 1, v1
	v_add_u32_e32 v3, -1, v1
	s_waitcnt lgkmcnt(0)
	s_mul_i32 s3, s6, s3
	s_mul_hi_u32 s4, s6, s2
	s_mul_i32 s5, s26, s2
	s_add_i32 s3, s4, s3
	s_mul_i32 s2, s6, s2
	s_add_i32 s3, s3, s5
	s_lshl_b64 s[2:3], s[2:3], 2
	s_lshl_b64 s[4:5], s[18:19], 2
	s_add_u32 s2, s2, s4
	s_addc_u32 s3, s3, s5
	s_add_u32 s38, s14, s2
	s_addc_u32 s39, s15, s3
	s_mul_i32 s2, s6, s13
	s_mul_hi_u32 s3, s6, s12
	s_add_i32 s2, s3, s2
	s_mul_i32 s3, s26, s12
	s_add_i32 s3, s2, s3
	s_mul_i32 s2, s6, s12
	s_lshl_b64 s[2:3], s[2:3], 2
	s_add_u32 s18, s10, s2
	s_addc_u32 s19, s11, s3
	s_movk_i32 s4, 0x1bf
	s_cmp_gt_i32 s16, 1
	v_lshrrev_b32_e32 v1, 1, v3
	v_cmp_lt_u32_e64 s[4:5], s4, v4
	v_cmp_lt_u32_e64 s[14:15], 63, v4
	v_and_b32_e32 v4, 0x7fffffe, v2
	s_cselect_b64 s[20:21], -1, 0
	v_add_u32_e32 v5, 1, v1
	v_and_b32_e32 v6, 7, v2
	v_cmp_ne_u32_e64 s[12:13], v2, v4
	v_lshlrev_b32_e32 v14, 2, v0
	s_lshl_b32 s6, s33, 6
	v_mbcnt_lo_u32_b32 v2, -1, 0
	v_lshl_or_b32 v11, v4, 6, v0
	v_and_b32_e32 v12, 3, v5
	v_mov_b32_e32 v15, s39
	v_add_co_u32_e32 v16, vcc, s38, v14
	s_add_u32 s40, s38, 0x700
	v_mbcnt_hi_u32_b32 v20, -1, v2
	v_cmp_eq_u32_e64 s[22:23], 0, v0
	v_lshrrev_b32_e32 v10, 4, v0
	v_cmp_ne_u32_e64 s[2:3], 0, v6
	v_or_b32_e32 v1, 64, v0
	v_cmp_lt_u32_e64 s[8:9], 5, v3
	v_and_b32_e32 v13, -4, v5
	v_cmp_ne_u32_e64 s[10:11], 0, v12
	v_mov_b32_e32 v3, 0
	v_addc_co_u32_e32 v17, vcc, 0, v15, vcc
	s_mul_i32 s24, s7, s33
	v_lshlrev_b32_e32 v18, 2, v6
	s_addc_u32 s41, s39, 0
	v_lshlrev_b32_e32 v19, 2, v11
	v_and_b32_e32 v21, 63, v20
	s_branch .LBB0_20
.LBB0_19:                               ;   in Loop: Header=BB0_20 Depth=1
	s_or_b64 exec, exec, s[28:29]
	s_add_i32 s7, s7, 64
	s_add_i32 s24, s24, s6
	s_cmp_ge_i32 s7, s17
	s_cbranch_scc1 .LBB0_53
.LBB0_20:                               ; =>This Loop Header: Depth=1
                                        ;     Child Loop BB0_23 Depth 2
                                        ;     Child Loop BB0_27 Depth 2
	;; [unrolled: 1-line block ×5, first 2 shown]
	s_ashr_i32 s25, s24, 31
	s_lshl_b64 s[26:27], s[24:25], 2
	v_mov_b32_e32 v6, 0
	s_and_saveexec_b64 s[28:29], s[0:1]
	s_cbranch_execz .LBB0_30
; %bb.21:                               ;   in Loop: Header=BB0_20 Depth=1
	v_mov_b32_e32 v6, 0
	v_mov_b32_e32 v2, v0
	s_and_saveexec_b64 s[30:31], s[2:3]
	s_cbranch_execz .LBB0_25
; %bb.22:                               ;   in Loop: Header=BB0_20 Depth=1
	v_mov_b32_e32 v2, s27
	v_add_co_u32_e32 v4, vcc, s26, v16
	v_addc_co_u32_e32 v5, vcc, v17, v2, vcc
	s_mov_b64 s[34:35], 0
	v_mov_b32_e32 v6, 0
	v_mov_b32_e32 v7, v18
	;; [unrolled: 1-line block ×4, first 2 shown]
.LBB0_23:                               ;   Parent Loop BB0_20 Depth=1
                                        ; =>  This Inner Loop Header: Depth=2
	global_load_dword v9, v[4:5], off
	ds_read_b32 v22, v8
	v_add_co_u32_e32 v4, vcc, 0x100, v4
	v_add_u32_e32 v7, -4, v7
	v_addc_co_u32_e32 v5, vcc, 0, v5, vcc
	v_cmp_eq_u32_e32 vcc, 0, v7
	v_add_u32_e32 v2, 64, v2
	v_add_u32_e32 v8, 0x100, v8
	s_or_b64 s[34:35], vcc, s[34:35]
	s_waitcnt vmcnt(0) lgkmcnt(0)
	v_mul_f32_e32 v9, v22, v9
	v_add_f32_e32 v6, v6, v9
	s_andn2_b64 exec, exec, s[34:35]
	s_cbranch_execnz .LBB0_23
; %bb.24:                               ;   in Loop: Header=BB0_20 Depth=1
	s_or_b64 exec, exec, s[34:35]
.LBB0_25:                               ;   in Loop: Header=BB0_20 Depth=1
	s_or_b64 exec, exec, s[30:31]
	s_and_saveexec_b64 s[30:31], s[4:5]
	s_cbranch_execz .LBB0_29
; %bb.26:                               ;   in Loop: Header=BB0_20 Depth=1
	s_add_u32 s25, s40, s26
	v_lshlrev_b64 v[4:5], 2, v[2:3]
	s_addc_u32 s34, s41, s27
	v_mov_b32_e32 v8, s34
	v_add_co_u32_e32 v4, vcc, s25, v4
	v_lshlrev_b32_e32 v7, 2, v2
	v_addc_co_u32_e32 v5, vcc, v8, v5, vcc
	s_mov_b64 s[34:35], 0
.LBB0_27:                               ;   Parent Loop BB0_20 Depth=1
                                        ; =>  This Inner Loop Header: Depth=2
	global_load_dword v28, v[4:5], off offset:-1792
	global_load_dword v29, v[4:5], off offset:-1536
	;; [unrolled: 1-line block ×7, first 2 shown]
	global_load_dword v35, v[4:5], off
	ds_read2st64_b32 v[8:9], v7 offset1:1
	ds_read2st64_b32 v[22:23], v7 offset0:2 offset1:3
	ds_read2st64_b32 v[24:25], v7 offset0:4 offset1:5
	ds_read2st64_b32 v[26:27], v7 offset0:6 offset1:7
	v_add_co_u32_e32 v4, vcc, 0x800, v4
	v_add_u32_e32 v2, 0x200, v2
	v_addc_co_u32_e32 v5, vcc, 0, v5, vcc
	v_cmp_le_i32_e32 vcc, s16, v2
	v_add_u32_e32 v7, 0x800, v7
	s_or_b64 s[34:35], vcc, s[34:35]
	s_waitcnt vmcnt(7) lgkmcnt(3)
	v_mul_f32_e32 v8, v8, v28
	s_waitcnt vmcnt(6)
	v_mul_f32_e32 v9, v9, v29
	v_add_f32_e32 v6, v6, v8
	s_waitcnt vmcnt(5) lgkmcnt(2)
	v_mul_f32_e32 v22, v22, v30
	v_add_f32_e32 v6, v6, v9
	s_waitcnt vmcnt(4)
	v_mul_f32_e32 v23, v23, v31
	v_add_f32_e32 v6, v6, v22
	s_waitcnt vmcnt(3) lgkmcnt(1)
	v_mul_f32_e32 v24, v24, v32
	v_add_f32_e32 v6, v6, v23
	;; [unrolled: 6-line block ×3, first 2 shown]
	s_waitcnt vmcnt(0)
	v_mul_f32_e32 v27, v27, v35
	v_add_f32_e32 v6, v6, v26
	v_add_f32_e32 v6, v6, v27
	s_andn2_b64 exec, exec, s[34:35]
	s_cbranch_execnz .LBB0_27
; %bb.28:                               ;   in Loop: Header=BB0_20 Depth=1
	s_or_b64 exec, exec, s[34:35]
.LBB0_29:                               ;   in Loop: Header=BB0_20 Depth=1
	s_or_b64 exec, exec, s[30:31]
.LBB0_30:                               ;   in Loop: Header=BB0_20 Depth=1
	s_or_b64 exec, exec, s[28:29]
	s_and_b64 vcc, exec, s[20:21]
	s_cbranch_vccz .LBB0_35
; %bb.31:                               ;   in Loop: Header=BB0_20 Depth=1
	v_cmp_ne_u32_e32 vcc, 63, v21
	v_addc_co_u32_e32 v2, vcc, 0, v20, vcc
	v_lshlrev_b32_e32 v2, 2, v2
	ds_bpermute_b32 v2, v2, v6
	v_cmp_gt_u32_e32 vcc, 62, v21
	v_cndmask_b32_e64 v4, 0, 1, vcc
	v_lshlrev_b32_e32 v4, 1, v4
	v_add_lshl_u32 v4, v4, v20, 2
	s_waitcnt lgkmcnt(0)
	v_add_f32_e32 v2, v6, v2
	ds_bpermute_b32 v4, v4, v2
	v_cmp_gt_u32_e32 vcc, 60, v21
	v_cndmask_b32_e64 v5, 0, 1, vcc
	v_cmp_gt_u32_e32 vcc, 56, v21
	s_waitcnt lgkmcnt(0)
	v_add_f32_e32 v2, v2, v4
	v_lshlrev_b32_e32 v4, 2, v5
	v_add_lshl_u32 v4, v4, v20, 2
	ds_bpermute_b32 v4, v4, v2
	v_cndmask_b32_e64 v5, 0, 1, vcc
	v_cmp_gt_u32_e32 vcc, 48, v21
	s_waitcnt lgkmcnt(0)
	v_add_f32_e32 v2, v2, v4
	v_lshlrev_b32_e32 v4, 3, v5
	v_add_lshl_u32 v4, v4, v20, 2
	ds_bpermute_b32 v4, v4, v2
	;; [unrolled: 7-line block ×3, first 2 shown]
	v_cndmask_b32_e64 v5, 0, 1, vcc
	s_waitcnt lgkmcnt(0)
	v_add_f32_e32 v2, v2, v4
	v_lshlrev_b32_e32 v4, 5, v5
	v_add_lshl_u32 v4, v4, v20, 2
	ds_bpermute_b32 v4, v4, v2
	s_waitcnt lgkmcnt(0)
	v_add_f32_e32 v2, v2, v4
	s_and_saveexec_b64 s[28:29], s[22:23]
	s_cbranch_execz .LBB0_33
; %bb.32:                               ;   in Loop: Header=BB0_20 Depth=1
	ds_write_b32 v10, v2 offset:8192
.LBB0_33:                               ;   in Loop: Header=BB0_20 Depth=1
	s_or_b64 exec, exec, s[28:29]
	s_waitcnt lgkmcnt(0)
	; wave barrier
	s_waitcnt lgkmcnt(0)
	s_mov_b64 s[28:29], s[22:23]
.LBB0_34:                               ;   in Loop: Header=BB0_20 Depth=1
	v_mov_b32_e32 v6, v2
	s_and_saveexec_b64 s[30:31], s[28:29]
	s_cbranch_execnz .LBB0_37
	s_branch .LBB0_38
.LBB0_35:                               ;   in Loop: Header=BB0_20 Depth=1
	s_mov_b64 s[28:29], 0
                                        ; implicit-def: $vgpr2
	s_cbranch_execz .LBB0_34
; %bb.36:                               ;   in Loop: Header=BB0_20 Depth=1
	s_andn2_b64 s[28:29], s[28:29], exec
	s_and_b64 s[30:31], s[22:23], exec
	s_or_b64 s[28:29], s[28:29], s[30:31]
	s_and_saveexec_b64 s[30:31], s[28:29]
	s_cbranch_execz .LBB0_38
.LBB0_37:                               ;   in Loop: Header=BB0_20 Depth=1
	ds_write_b32 v3, v6 offset:8192
.LBB0_38:                               ;   in Loop: Header=BB0_20 Depth=1
	s_or_b64 exec, exec, s[30:31]
	s_waitcnt lgkmcnt(0)
	; wave barrier
	s_waitcnt lgkmcnt(0)
	s_and_saveexec_b64 s[28:29], s[0:1]
	s_cbranch_execz .LBB0_19
; %bb.39:                               ;   in Loop: Header=BB0_20 Depth=1
	global_load_dword v2, v3, s[18:19]
	ds_read_b32 v4, v3 offset:8192
	s_mov_b64 s[34:35], -1
	v_mov_b32_e32 v6, v0
	s_waitcnt vmcnt(0) lgkmcnt(0)
	v_mul_f32_e64 v4, v4, -v2
	v_mov_b32_e32 v2, v14
	s_and_saveexec_b64 s[30:31], s[14:15]
	s_cbranch_execz .LBB0_50
; %bb.40:                               ;   in Loop: Header=BB0_20 Depth=1
	s_mul_i32 s25, s7, s33
	v_mov_b32_e32 v5, v4
	v_mov_b32_e32 v9, 0
	v_pk_mov_b32 v[6:7], v[0:1], v[0:1] op_sel:[0,1]
	s_and_saveexec_b64 s[34:35], s[8:9]
	s_cbranch_execz .LBB0_44
; %bb.41:                               ;   in Loop: Header=BB0_20 Depth=1
	s_mov_b32 s42, 0
	s_mov_b64 s[36:37], 0
	v_mov_b32_e32 v2, v13
	v_mov_b32_e32 v8, v14
	v_pk_mov_b32 v[6:7], v[0:1], v[0:1] op_sel:[0,1]
.LBB0_42:                               ;   Parent Loop BB0_20 Depth=1
                                        ; =>  This Inner Loop Header: Depth=2
	v_add_u32_e32 v22, s25, v6
	v_ashrrev_i32_e32 v23, 31, v22
	v_add_u32_e32 v24, s25, v7
	v_lshlrev_b64 v[26:27], 2, v[22:23]
	v_ashrrev_i32_e32 v25, 31, v24
	v_add_co_u32_e32 v26, vcc, s38, v26
	v_lshlrev_b64 v[28:29], 2, v[24:25]
	v_addc_co_u32_e32 v27, vcc, v15, v27, vcc
	v_add_co_u32_e32 v28, vcc, s38, v28
	v_addc_co_u32_e32 v29, vcc, v15, v29, vcc
	global_load_dword v30, v[26:27], off
	global_load_dword v31, v[28:29], off
	v_add_u32_e32 v40, 0x80, v22
	v_ashrrev_i32_e32 v41, 31, v40
	ds_read2st64_b32 v[32:33], v8 offset1:1
	ds_read2st64_b32 v[34:35], v8 offset0:2 offset1:3
	ds_read2st64_b32 v[36:37], v8 offset0:4 offset1:5
	ds_read2st64_b32 v[38:39], v8 offset0:6 offset1:7
	v_add_u32_e32 v42, 0x80, v24
	v_lshlrev_b64 v[40:41], 2, v[40:41]
	v_ashrrev_i32_e32 v43, 31, v42
	v_add_co_u32_e32 v40, vcc, s38, v40
	v_lshlrev_b64 v[42:43], 2, v[42:43]
	v_addc_co_u32_e32 v41, vcc, v15, v41, vcc
	v_add_co_u32_e32 v42, vcc, s38, v42
	v_addc_co_u32_e32 v43, vcc, v15, v43, vcc
	v_add_u32_e32 v2, -4, v2
	s_add_i32 s42, s42, 8
	v_add_u32_e32 v7, 0x200, v7
	v_add_u32_e32 v6, 0x200, v6
	;; [unrolled: 1-line block ×3, first 2 shown]
	v_mov_b32_e32 v9, s42
	s_waitcnt vmcnt(0) lgkmcnt(3)
	v_pk_fma_f32 v[30:31], v[4:5], v[32:33], v[30:31]
	global_store_dword v[26:27], v30, off
	global_store_dword v[28:29], v31, off
	global_load_dword v26, v[40:41], off
	s_nop 0
	global_load_dword v27, v[42:43], off
	v_add_u32_e32 v28, 0x100, v22
	v_ashrrev_i32_e32 v29, 31, v28
	v_add_u32_e32 v30, 0x100, v24
	v_lshlrev_b64 v[28:29], 2, v[28:29]
	v_ashrrev_i32_e32 v31, 31, v30
	v_add_co_u32_e32 v28, vcc, s38, v28
	v_lshlrev_b64 v[30:31], 2, v[30:31]
	v_addc_co_u32_e32 v29, vcc, v15, v29, vcc
	v_add_co_u32_e32 v30, vcc, s38, v30
	v_addc_co_u32_e32 v31, vcc, v15, v31, vcc
	v_add_u32_e32 v22, 0x180, v22
	v_ashrrev_i32_e32 v23, 31, v22
	v_add_u32_e32 v24, 0x180, v24
	v_lshlrev_b64 v[22:23], 2, v[22:23]
	v_ashrrev_i32_e32 v25, 31, v24
	v_add_co_u32_e32 v22, vcc, s38, v22
	v_lshlrev_b64 v[24:25], 2, v[24:25]
	v_addc_co_u32_e32 v23, vcc, v15, v23, vcc
	v_add_co_u32_e32 v24, vcc, s38, v24
	v_addc_co_u32_e32 v25, vcc, v15, v25, vcc
	v_cmp_eq_u32_e32 vcc, 0, v2
	s_or_b64 s[36:37], vcc, s[36:37]
	s_waitcnt vmcnt(0) lgkmcnt(2)
	v_pk_fma_f32 v[26:27], v[4:5], v[34:35], v[26:27]
	global_store_dword v[40:41], v26, off
	global_store_dword v[42:43], v27, off
	global_load_dword v26, v[28:29], off
	s_nop 0
	global_load_dword v27, v[30:31], off
	s_waitcnt vmcnt(0) lgkmcnt(1)
	v_pk_fma_f32 v[26:27], v[4:5], v[36:37], v[26:27]
	global_store_dword v[28:29], v26, off
	global_store_dword v[30:31], v27, off
	global_load_dword v26, v[22:23], off
	s_nop 0
	global_load_dword v27, v[24:25], off
	s_waitcnt vmcnt(0) lgkmcnt(0)
	v_pk_fma_f32 v[26:27], v[4:5], v[38:39], v[26:27]
	global_store_dword v[22:23], v26, off
	global_store_dword v[24:25], v27, off
	s_andn2_b64 exec, exec, s[36:37]
	s_cbranch_execnz .LBB0_42
; %bb.43:                               ;   in Loop: Header=BB0_20 Depth=1
	s_or_b64 exec, exec, s[36:37]
.LBB0_44:                               ;   in Loop: Header=BB0_20 Depth=1
	s_or_b64 exec, exec, s[34:35]
	s_and_saveexec_b64 s[34:35], s[10:11]
	s_cbranch_execz .LBB0_47
; %bb.45:                               ;   in Loop: Header=BB0_20 Depth=1
	v_lshl_or_b32 v2, v9, 8, v14
	s_mov_b64 s[36:37], 0
	v_mov_b32_e32 v8, v12
.LBB0_46:                               ;   Parent Loop BB0_20 Depth=1
                                        ; =>  This Inner Loop Header: Depth=2
	v_add_u32_e32 v22, s25, v6
	v_ashrrev_i32_e32 v23, 31, v22
	v_add_u32_e32 v24, s25, v7
	v_lshlrev_b64 v[22:23], 2, v[22:23]
	v_ashrrev_i32_e32 v25, 31, v24
	v_add_co_u32_e32 v22, vcc, s38, v22
	v_lshlrev_b64 v[24:25], 2, v[24:25]
	v_addc_co_u32_e32 v23, vcc, v15, v23, vcc
	v_add_co_u32_e32 v24, vcc, s38, v24
	v_addc_co_u32_e32 v25, vcc, v15, v25, vcc
	global_load_dword v26, v[22:23], off
	global_load_dword v27, v[24:25], off
	ds_read2st64_b32 v[28:29], v2 offset1:1
	v_add_u32_e32 v8, -1, v8
	v_cmp_eq_u32_e32 vcc, 0, v8
	v_add_u32_e32 v7, 0x80, v7
	v_add_u32_e32 v6, 0x80, v6
	;; [unrolled: 1-line block ×3, first 2 shown]
	s_or_b64 s[36:37], vcc, s[36:37]
	s_waitcnt vmcnt(0) lgkmcnt(0)
	v_pk_fma_f32 v[26:27], v[4:5], v[28:29], v[26:27]
	global_store_dword v[22:23], v26, off
	global_store_dword v[24:25], v27, off
	s_andn2_b64 exec, exec, s[36:37]
	s_cbranch_execnz .LBB0_46
.LBB0_47:                               ;   in Loop: Header=BB0_20 Depth=1
	s_or_b64 exec, exec, s[34:35]
	s_mov_b64 s[34:35], 0
	s_and_saveexec_b64 s[36:37], s[12:13]
	s_xor_b64 s[36:37], exec, s[36:37]
; %bb.48:                               ;   in Loop: Header=BB0_20 Depth=1
	s_mov_b64 s[34:35], exec
; %bb.49:                               ;   in Loop: Header=BB0_20 Depth=1
	s_or_b64 exec, exec, s[36:37]
	s_orn2_b64 s[34:35], s[34:35], exec
	v_mov_b32_e32 v6, v11
	v_mov_b32_e32 v2, v19
.LBB0_50:                               ;   in Loop: Header=BB0_20 Depth=1
	s_or_b64 exec, exec, s[30:31]
	s_and_b64 exec, exec, s[34:35]
	s_cbranch_execz .LBB0_19
; %bb.51:                               ;   in Loop: Header=BB0_20 Depth=1
	v_ashrrev_i32_e32 v7, 31, v6
	s_add_u32 s25, s38, s26
	v_lshlrev_b64 v[8:9], 2, v[6:7]
	s_addc_u32 s26, s39, s27
	v_mov_b32_e32 v5, s26
	v_add_co_u32_e32 v8, vcc, s25, v8
	v_addc_co_u32_e32 v9, vcc, v5, v9, vcc
	s_mov_b64 s[26:27], 0
.LBB0_52:                               ;   Parent Loop BB0_20 Depth=1
                                        ; =>  This Inner Loop Header: Depth=2
	global_load_dword v5, v[8:9], off
	ds_read_b32 v7, v2
	v_add_u32_e32 v6, 64, v6
	v_cmp_le_i32_e32 vcc, s16, v6
	s_or_b64 s[26:27], vcc, s[26:27]
	v_add_u32_e32 v2, 0x100, v2
	s_waitcnt vmcnt(0) lgkmcnt(0)
	v_fmac_f32_e32 v5, v4, v7
	global_store_dword v[8:9], v5, off
	v_add_co_u32_e32 v8, vcc, 0x100, v8
	v_addc_co_u32_e32 v9, vcc, 0, v9, vcc
	s_andn2_b64 exec, exec, s[26:27]
	s_cbranch_execnz .LBB0_52
	s_branch .LBB0_19
.LBB0_53:
	s_endpgm
	.section	.rodata,"a",@progbits
	.p2align	6, 0x0
	.amdhsa_kernel _ZN9rocsolver6v33100L22larf_left_kernel_smallILi64EfiPfEEvT1_S3_T2_lS3_lPKT0_lS4_lS3_l
		.amdhsa_group_segment_fixed_size 8448
		.amdhsa_private_segment_fixed_size 0
		.amdhsa_kernarg_size 88
		.amdhsa_user_sgpr_count 6
		.amdhsa_user_sgpr_private_segment_buffer 1
		.amdhsa_user_sgpr_dispatch_ptr 0
		.amdhsa_user_sgpr_queue_ptr 0
		.amdhsa_user_sgpr_kernarg_segment_ptr 1
		.amdhsa_user_sgpr_dispatch_id 0
		.amdhsa_user_sgpr_flat_scratch_init 0
		.amdhsa_user_sgpr_kernarg_preload_length 0
		.amdhsa_user_sgpr_kernarg_preload_offset 0
		.amdhsa_user_sgpr_private_segment_size 0
		.amdhsa_uses_dynamic_stack 0
		.amdhsa_system_sgpr_private_segment_wavefront_offset 0
		.amdhsa_system_sgpr_workgroup_id_x 1
		.amdhsa_system_sgpr_workgroup_id_y 1
		.amdhsa_system_sgpr_workgroup_id_z 0
		.amdhsa_system_sgpr_workgroup_info 0
		.amdhsa_system_vgpr_workitem_id 0
		.amdhsa_next_free_vgpr 44
		.amdhsa_next_free_sgpr 43
		.amdhsa_accum_offset 44
		.amdhsa_reserve_vcc 1
		.amdhsa_reserve_flat_scratch 0
		.amdhsa_float_round_mode_32 0
		.amdhsa_float_round_mode_16_64 0
		.amdhsa_float_denorm_mode_32 3
		.amdhsa_float_denorm_mode_16_64 3
		.amdhsa_dx10_clamp 1
		.amdhsa_ieee_mode 1
		.amdhsa_fp16_overflow 0
		.amdhsa_tg_split 0
		.amdhsa_exception_fp_ieee_invalid_op 0
		.amdhsa_exception_fp_denorm_src 0
		.amdhsa_exception_fp_ieee_div_zero 0
		.amdhsa_exception_fp_ieee_overflow 0
		.amdhsa_exception_fp_ieee_underflow 0
		.amdhsa_exception_fp_ieee_inexact 0
		.amdhsa_exception_int_div_zero 0
	.end_amdhsa_kernel
	.section	.text._ZN9rocsolver6v33100L22larf_left_kernel_smallILi64EfiPfEEvT1_S3_T2_lS3_lPKT0_lS4_lS3_l,"axG",@progbits,_ZN9rocsolver6v33100L22larf_left_kernel_smallILi64EfiPfEEvT1_S3_T2_lS3_lPKT0_lS4_lS3_l,comdat
.Lfunc_end0:
	.size	_ZN9rocsolver6v33100L22larf_left_kernel_smallILi64EfiPfEEvT1_S3_T2_lS3_lPKT0_lS4_lS3_l, .Lfunc_end0-_ZN9rocsolver6v33100L22larf_left_kernel_smallILi64EfiPfEEvT1_S3_T2_lS3_lPKT0_lS4_lS3_l
                                        ; -- End function
	.section	.AMDGPU.csdata,"",@progbits
; Kernel info:
; codeLenInByte = 3280
; NumSgprs: 47
; NumVgprs: 44
; NumAgprs: 0
; TotalNumVgprs: 44
; ScratchSize: 0
; MemoryBound: 0
; FloatMode: 240
; IeeeMode: 1
; LDSByteSize: 8448 bytes/workgroup (compile time only)
; SGPRBlocks: 5
; VGPRBlocks: 5
; NumSGPRsForWavesPerEU: 47
; NumVGPRsForWavesPerEU: 44
; AccumOffset: 44
; Occupancy: 2
; WaveLimiterHint : 1
; COMPUTE_PGM_RSRC2:SCRATCH_EN: 0
; COMPUTE_PGM_RSRC2:USER_SGPR: 6
; COMPUTE_PGM_RSRC2:TRAP_HANDLER: 0
; COMPUTE_PGM_RSRC2:TGID_X_EN: 1
; COMPUTE_PGM_RSRC2:TGID_Y_EN: 1
; COMPUTE_PGM_RSRC2:TGID_Z_EN: 0
; COMPUTE_PGM_RSRC2:TIDIG_COMP_CNT: 0
; COMPUTE_PGM_RSRC3_GFX90A:ACCUM_OFFSET: 10
; COMPUTE_PGM_RSRC3_GFX90A:TG_SPLIT: 0
	.section	.text._ZN9rocsolver6v33100L22larf_left_kernel_smallILi128EfiPfEEvT1_S3_T2_lS3_lPKT0_lS4_lS3_l,"axG",@progbits,_ZN9rocsolver6v33100L22larf_left_kernel_smallILi128EfiPfEEvT1_S3_T2_lS3_lPKT0_lS4_lS3_l,comdat
	.globl	_ZN9rocsolver6v33100L22larf_left_kernel_smallILi128EfiPfEEvT1_S3_T2_lS3_lPKT0_lS4_lS3_l ; -- Begin function _ZN9rocsolver6v33100L22larf_left_kernel_smallILi128EfiPfEEvT1_S3_T2_lS3_lPKT0_lS4_lS3_l
	.p2align	8
	.type	_ZN9rocsolver6v33100L22larf_left_kernel_smallILi128EfiPfEEvT1_S3_T2_lS3_lPKT0_lS4_lS3_l,@function
_ZN9rocsolver6v33100L22larf_left_kernel_smallILi128EfiPfEEvT1_S3_T2_lS3_lPKT0_lS4_lS3_l: ; @_ZN9rocsolver6v33100L22larf_left_kernel_smallILi128EfiPfEEvT1_S3_T2_lS3_lPKT0_lS4_lS3_l
; %bb.0:
	s_load_dwordx2 s[20:21], s[4:5], 0x0
	s_load_dwordx8 s[8:15], s[4:5], 0x20
	s_load_dwordx2 s[16:17], s[4:5], 0x40
	s_ashr_i32 s26, s6, 31
	s_waitcnt lgkmcnt(0)
	v_cmp_gt_i32_e64 s[0:1], s20, v0
	v_xad_u32 v4, v0, -1, s20
	s_and_saveexec_b64 s[18:19], s[0:1]
	s_cbranch_execz .LBB1_17
; %bb.1:
	s_load_dwordx4 s[36:39], s[4:5], 0x8
	s_load_dword s28, s[4:5], 0x18
	s_mul_i32 s2, s6, s9
	s_mul_hi_u32 s3, s6, s8
	s_add_i32 s2, s3, s2
	s_mul_i32 s3, s26, s8
	s_add_i32 s3, s2, s3
	s_mul_i32 s2, s6, s8
	s_lshl_b64 s[2:3], s[2:3], 2
	s_waitcnt lgkmcnt(0)
	s_add_u32 s8, s36, s2
	s_addc_u32 s9, s37, s3
	s_lshl_b64 s[2:3], s[38:39], 2
	s_add_u32 s27, s8, s2
	s_addc_u32 s29, s9, s3
	s_sub_i32 s2, 1, s20
	s_mul_i32 s2, s2, s28
	s_cmp_lt_i32 s28, 1
	s_cselect_b32 s30, s2, 0
	s_movk_i32 s2, 0xb7f
	v_cmp_lt_u32_e32 vcc, s2, v4
	s_mov_b64 s[2:3], 0
                                        ; implicit-def: $vgpr1
                                        ; implicit-def: $sgpr31
	s_and_saveexec_b64 s[8:9], vcc
	s_xor_b64 s[22:23], exec, s[8:9]
	s_cbranch_execnz .LBB1_4
; %bb.2:
	s_or_saveexec_b64 s[8:9], s[22:23]
	v_mov_b32_e32 v5, s31
	s_xor_b64 exec, exec, s[8:9]
	s_cbranch_execnz .LBB1_14
.LBB1_3:
	s_or_b64 exec, exec, s[8:9]
	s_and_b64 exec, exec, s[2:3]
	s_cbranch_execnz .LBB1_15
	s_branch .LBB1_17
.LBB1_4:
	s_lshl_b32 s31, s28, 7
	s_sub_i32 s8, 0, s31
	s_cmp_lt_i32 s31, 0
	s_cselect_b64 vcc, -1, 0
	s_and_b64 s[2:3], vcc, exec
	v_lshrrev_b32_e32 v5, 7, v4
	s_cselect_b32 s8, s8, s31
	v_mul_lo_u32 v1, v0, s28
	v_mul_hi_u32 v2, s8, v5
	v_add_u32_e32 v1, s30, v1
	v_cmp_eq_u32_e64 s[2:3], 0, v2
	v_mul_lo_u32 v2, s8, v5
	v_add_u32_e32 v3, v1, v2
	v_sub_u32_e32 v2, v1, v2
	v_cmp_gt_i32_e64 s[8:9], v2, v1
	v_cndmask_b32_e64 v2, 0, 1, s[8:9]
	v_cmp_lt_i32_e64 s[8:9], v3, v1
	v_cndmask_b32_e64 v1, 0, 1, s[8:9]
	v_cndmask_b32_e32 v1, v1, v2, vcc
	v_and_b32_e32 v1, 1, v1
	v_cmp_eq_u32_e32 vcc, 1, v1
	s_xor_b64 s[24:25], vcc, -1
	s_mov_b64 s[8:9], -1
	s_and_b64 s[24:25], s[24:25], s[2:3]
	v_mov_b32_e32 v1, v0
	s_and_saveexec_b64 s[2:3], s[24:25]
	s_cbranch_execz .LBB1_13
; %bb.5:
	v_add_u32_e32 v2, -1, v5
	v_or_b32_e32 v1, 0x80, v0
	v_lshrrev_b32_e32 v3, 1, v2
	v_add_u32_e32 v6, 1, v3
	v_cmp_lt_u32_e32 vcc, 5, v2
	v_mov_b32_e32 v10, 0
	v_pk_mov_b32 v[2:3], v[0:1], v[0:1] op_sel:[0,1]
	s_and_saveexec_b64 s[8:9], vcc
	s_cbranch_execz .LBB1_9
; %bb.6:
	v_and_b32_e32 v7, -4, v6
	v_lshlrev_b32_e32 v8, 2, v0
	s_mov_b32 s33, 0
	s_mov_b64 s[24:25], 0
	v_mov_b32_e32 v9, s29
	v_pk_mov_b32 v[2:3], v[0:1], v[0:1] op_sel:[0,1]
.LBB1_7:                                ; =>This Inner Loop Header: Depth=1
	v_mul_lo_u32 v10, v2, s28
	v_add_u32_e32 v11, 0x100, v2
	v_add_u32_e32 v10, s30, v10
	v_mul_lo_u32 v1, v3, s28
	v_mul_lo_u32 v18, v11, s28
	v_ashrrev_i32_e32 v11, 31, v10
	v_add_u32_e32 v13, 0x100, v3
	v_add_u32_e32 v12, s30, v1
	v_lshlrev_b64 v[10:11], 2, v[10:11]
	v_add_u32_e32 v14, 0x200, v2
	v_add_u32_e32 v15, 0x200, v3
	v_mul_lo_u32 v1, v13, s28
	v_ashrrev_i32_e32 v13, 31, v12
	v_add_co_u32_e32 v10, vcc, s27, v10
	v_mul_lo_u32 v15, v15, s28
	v_mul_lo_u32 v19, v14, s28
	v_add_u32_e32 v14, s30, v18
	v_lshlrev_b64 v[12:13], 2, v[12:13]
	v_addc_co_u32_e32 v11, vcc, v9, v11, vcc
	v_add_u32_e32 v16, 0x300, v2
	v_add_u32_e32 v17, 0x300, v3
	;; [unrolled: 1-line block ×3, first 2 shown]
	v_ashrrev_i32_e32 v15, 31, v14
	v_add_co_u32_e32 v12, vcc, s27, v12
	v_mul_lo_u32 v17, v17, s28
	v_mul_lo_u32 v21, v16, s28
	v_add_u32_e32 v16, s30, v1
	v_addc_co_u32_e32 v13, vcc, v9, v13, vcc
	v_lshlrev_b64 v[14:15], 2, v[14:15]
	v_add_u32_e32 v24, s30, v17
	v_ashrrev_i32_e32 v17, 31, v16
	v_add_co_u32_e32 v14, vcc, s27, v14
	v_add_u32_e32 v18, s30, v19
	v_lshlrev_b64 v[16:17], 2, v[16:17]
	v_addc_co_u32_e32 v15, vcc, v9, v15, vcc
	v_ashrrev_i32_e32 v19, 31, v18
	v_add_co_u32_e32 v16, vcc, s27, v16
	v_lshlrev_b64 v[18:19], 2, v[18:19]
	v_addc_co_u32_e32 v17, vcc, v9, v17, vcc
	v_add_u32_e32 v22, s30, v21
	v_ashrrev_i32_e32 v21, 31, v20
	v_add_co_u32_e32 v18, vcc, s27, v18
	v_lshlrev_b64 v[20:21], 2, v[20:21]
	v_addc_co_u32_e32 v19, vcc, v9, v19, vcc
	v_ashrrev_i32_e32 v23, 31, v22
	v_add_co_u32_e32 v20, vcc, s27, v20
	v_lshlrev_b64 v[22:23], 2, v[22:23]
	v_addc_co_u32_e32 v21, vcc, v9, v21, vcc
	;; [unrolled: 4-line block ×3, first 2 shown]
	v_add_co_u32_e32 v24, vcc, s27, v24
	v_addc_co_u32_e32 v25, vcc, v9, v25, vcc
	global_load_dword v1, v[10:11], off
	global_load_dword v26, v[12:13], off
	;; [unrolled: 1-line block ×8, first 2 shown]
	v_add_u32_e32 v7, -4, v7
	s_add_i32 s33, s33, 8
	v_cmp_eq_u32_e32 vcc, 0, v7
	v_add_u32_e32 v3, 0x400, v3
	v_add_u32_e32 v2, 0x400, v2
	v_mov_b32_e32 v10, s33
	s_or_b64 s[24:25], vcc, s[24:25]
	s_waitcnt vmcnt(6)
	ds_write2st64_b32 v8, v1, v26 offset1:2
	s_waitcnt vmcnt(4)
	ds_write2st64_b32 v8, v27, v28 offset0:4 offset1:6
	s_waitcnt vmcnt(2)
	ds_write2st64_b32 v8, v29, v30 offset0:8 offset1:10
	;; [unrolled: 2-line block ×3, first 2 shown]
	v_add_u32_e32 v8, 0x1000, v8
	s_andn2_b64 exec, exec, s[24:25]
	s_cbranch_execnz .LBB1_7
; %bb.8:
	s_or_b64 exec, exec, s[24:25]
.LBB1_9:
	s_or_b64 exec, exec, s[8:9]
	v_and_b32_e32 v1, 3, v6
	v_cmp_ne_u32_e32 vcc, 0, v1
	s_and_saveexec_b64 s[8:9], vcc
	s_cbranch_execz .LBB1_12
; %bb.10:
	v_lshlrev_b32_e32 v6, 2, v0
	v_lshl_or_b32 v6, v10, 9, v6
	s_mov_b64 s[24:25], 0
	v_mov_b32_e32 v7, s29
.LBB1_11:                               ; =>This Inner Loop Header: Depth=1
	v_mul_lo_u32 v8, v2, s28
	v_mul_lo_u32 v9, v3, s28
	v_add_u32_e32 v8, s30, v8
	v_add_u32_e32 v10, s30, v9
	v_ashrrev_i32_e32 v9, 31, v8
	v_lshlrev_b64 v[8:9], 2, v[8:9]
	v_ashrrev_i32_e32 v11, 31, v10
	v_add_co_u32_e32 v8, vcc, s27, v8
	v_lshlrev_b64 v[10:11], 2, v[10:11]
	v_addc_co_u32_e32 v9, vcc, v7, v9, vcc
	v_add_co_u32_e32 v10, vcc, s27, v10
	v_addc_co_u32_e32 v11, vcc, v7, v11, vcc
	global_load_dword v12, v[8:9], off
	global_load_dword v13, v[10:11], off
	v_add_u32_e32 v1, -1, v1
	v_cmp_eq_u32_e32 vcc, 0, v1
	v_add_u32_e32 v3, 0x100, v3
	v_add_u32_e32 v2, 0x100, v2
	s_or_b64 s[24:25], vcc, s[24:25]
	s_waitcnt vmcnt(0)
	ds_write2st64_b32 v6, v12, v13 offset1:2
	v_add_u32_e32 v6, 0x400, v6
	s_andn2_b64 exec, exec, s[24:25]
	s_cbranch_execnz .LBB1_11
.LBB1_12:
	s_or_b64 exec, exec, s[8:9]
	v_add_u32_e32 v2, 1, v5
	v_and_b32_e32 v3, 0x3fffffe, v2
	v_cmp_ne_u32_e32 vcc, v2, v3
	v_lshl_or_b32 v1, v3, 7, v0
	s_orn2_b64 s[8:9], vcc, exec
.LBB1_13:
	s_or_b64 exec, exec, s[2:3]
	s_and_b64 s[2:3], s[8:9], exec
	s_or_saveexec_b64 s[8:9], s[22:23]
	v_mov_b32_e32 v5, s31
	s_xor_b64 exec, exec, s[8:9]
	s_cbranch_execz .LBB1_3
.LBB1_14:
	s_lshl_b32 s22, s28, 7
	v_mov_b32_e32 v5, s22
	s_or_b64 s[2:3], s[2:3], exec
	v_mov_b32_e32 v1, v0
	s_or_b64 exec, exec, s[8:9]
	s_and_b64 exec, exec, s[2:3]
	s_cbranch_execz .LBB1_17
.LBB1_15:
	v_mul_lo_u32 v2, v1, s28
	v_add_u32_e32 v2, s30, v2
	v_lshlrev_b32_e32 v6, 2, v1
	s_mov_b64 s[2:3], 0
	v_mov_b32_e32 v7, s29
.LBB1_16:                               ; =>This Inner Loop Header: Depth=1
	v_ashrrev_i32_e32 v3, 31, v2
	v_lshlrev_b64 v[8:9], 2, v[2:3]
	v_add_co_u32_e32 v8, vcc, s27, v8
	v_addc_co_u32_e32 v9, vcc, v7, v9, vcc
	global_load_dword v3, v[8:9], off
	v_add_u32_e32 v1, 0x80, v1
	v_cmp_le_i32_e32 vcc, s20, v1
	v_add_u32_e32 v2, v2, v5
	s_or_b64 s[2:3], vcc, s[2:3]
	s_waitcnt vmcnt(0)
	ds_write_b32 v6, v3
	v_add_u32_e32 v6, 0x200, v6
	s_andn2_b64 exec, exec, s[2:3]
	s_cbranch_execnz .LBB1_16
.LBB1_17:
	s_or_b64 exec, exec, s[18:19]
	s_cmp_ge_i32 s7, s21
	s_waitcnt lgkmcnt(0)
	s_barrier
	s_cbranch_scc1 .LBB1_55
; %bb.18:
	s_load_dwordx2 s[2:3], s[4:5], 0x50
	s_load_dword s33, s[4:5], 0x48
	v_and_b32_e32 v1, 63, v0
	v_lshlrev_b32_e32 v14, 2, v0
	v_lshrrev_b32_e32 v10, 4, v0
	s_waitcnt lgkmcnt(0)
	s_mul_i32 s3, s6, s3
	s_mul_hi_u32 s4, s6, s2
	s_mul_i32 s5, s26, s2
	s_add_i32 s3, s4, s3
	s_mul_i32 s2, s6, s2
	s_add_i32 s3, s3, s5
	s_lshl_b64 s[2:3], s[2:3], 2
	s_lshl_b64 s[4:5], s[16:17], 2
	s_add_u32 s2, s2, s4
	s_addc_u32 s3, s3, s5
	s_add_u32 s40, s14, s2
	s_addc_u32 s41, s15, s3
	s_mul_i32 s2, s6, s13
	s_mul_hi_u32 s3, s6, s12
	s_add_i32 s2, s3, s2
	s_mul_i32 s3, s26, s12
	s_add_i32 s3, s2, s3
	s_mul_i32 s2, s6, s12
	s_lshl_b64 s[2:3], s[2:3], 2
	s_add_u32 s22, s10, s2
	s_addc_u32 s23, s11, s3
	v_cmp_eq_u32_e64 s[2:3], 0, v1
	v_lshrrev_b32_e32 v1, 7, v4
	s_movk_i32 s6, 0x37f
	v_add_u32_e32 v2, 1, v1
	v_add_u32_e32 v3, -1, v1
	v_cmp_lt_u32_e64 s[8:9], s6, v4
	s_movk_i32 s6, 0x7f
	s_cmp_gt_i32 s20, 1
	v_lshrrev_b32_e32 v1, 1, v3
	v_cmp_lt_u32_e64 s[10:11], s6, v4
	v_and_b32_e32 v4, 0x3fffffe, v2
	s_cselect_b64 s[24:25], -1, 0
	v_add_u32_e32 v5, 1, v1
	v_and_b32_e32 v6, 7, v2
	v_cmp_ne_u32_e64 s[16:17], v2, v4
	s_lshl_b32 s6, s33, 6
	v_mbcnt_lo_u32_b32 v2, -1, 0
	v_and_b32_e32 v12, 3, v5
	v_mov_b32_e32 v15, s41
	v_add_co_u32_e32 v16, vcc, s40, v14
	s_add_u32 s42, s40, 0x800
	v_mbcnt_hi_u32_b32 v19, -1, v2
	v_cmp_eq_u32_e64 s[4:5], 0, v0
	v_cmp_ne_u32_e64 s[18:19], 0, v6
	v_lshl_or_b32 v11, v4, 7, v0
	v_or_b32_e32 v1, 0x80, v0
	v_cmp_lt_u32_e64 s[12:13], 5, v3
	v_and_b32_e32 v13, -4, v5
	v_cmp_ne_u32_e64 s[14:15], 0, v12
	v_mov_b32_e32 v3, 0
	v_addc_co_u32_e32 v17, vcc, 0, v15, vcc
	s_mul_i32 s26, s7, s33
	v_lshlrev_b32_e32 v18, 2, v6
	s_addc_u32 s43, s41, 0
	v_and_b32_e32 v20, 63, v19
	s_branch .LBB1_20
.LBB1_19:                               ;   in Loop: Header=BB1_20 Depth=1
	s_or_b64 exec, exec, s[30:31]
	s_add_i32 s7, s7, 64
	s_add_i32 s26, s26, s6
	s_cmp_ge_i32 s7, s21
	s_cbranch_scc1 .LBB1_55
.LBB1_20:                               ; =>This Loop Header: Depth=1
                                        ;     Child Loop BB1_23 Depth 2
                                        ;     Child Loop BB1_27 Depth 2
	;; [unrolled: 1-line block ×5, first 2 shown]
	s_ashr_i32 s27, s26, 31
	s_lshl_b64 s[28:29], s[26:27], 2
	v_mov_b32_e32 v6, 0
	s_and_saveexec_b64 s[30:31], s[0:1]
	s_cbranch_execz .LBB1_30
; %bb.21:                               ;   in Loop: Header=BB1_20 Depth=1
	v_mov_b32_e32 v6, 0
	v_mov_b32_e32 v2, v0
	s_and_saveexec_b64 s[34:35], s[18:19]
	s_cbranch_execz .LBB1_25
; %bb.22:                               ;   in Loop: Header=BB1_20 Depth=1
	v_mov_b32_e32 v2, s29
	v_add_co_u32_e32 v4, vcc, s28, v16
	v_addc_co_u32_e32 v5, vcc, v17, v2, vcc
	s_mov_b64 s[36:37], 0
	v_mov_b32_e32 v6, 0
	v_mov_b32_e32 v7, v18
	v_mov_b32_e32 v8, v14
	v_mov_b32_e32 v2, v0
.LBB1_23:                               ;   Parent Loop BB1_20 Depth=1
                                        ; =>  This Inner Loop Header: Depth=2
	global_load_dword v9, v[4:5], off
	ds_read_b32 v21, v8
	v_add_co_u32_e32 v4, vcc, 0x200, v4
	v_add_u32_e32 v7, -4, v7
	v_addc_co_u32_e32 v5, vcc, 0, v5, vcc
	v_cmp_eq_u32_e32 vcc, 0, v7
	v_add_u32_e32 v2, 0x80, v2
	v_add_u32_e32 v8, 0x200, v8
	s_or_b64 s[36:37], vcc, s[36:37]
	s_waitcnt vmcnt(0) lgkmcnt(0)
	v_mul_f32_e32 v9, v21, v9
	v_add_f32_e32 v6, v6, v9
	s_andn2_b64 exec, exec, s[36:37]
	s_cbranch_execnz .LBB1_23
; %bb.24:                               ;   in Loop: Header=BB1_20 Depth=1
	s_or_b64 exec, exec, s[36:37]
.LBB1_25:                               ;   in Loop: Header=BB1_20 Depth=1
	s_or_b64 exec, exec, s[34:35]
	s_and_saveexec_b64 s[34:35], s[8:9]
	s_cbranch_execz .LBB1_29
; %bb.26:                               ;   in Loop: Header=BB1_20 Depth=1
	s_add_u32 s27, s42, s28
	v_lshlrev_b64 v[4:5], 2, v[2:3]
	s_addc_u32 s36, s43, s29
	v_mov_b32_e32 v8, s36
	v_add_co_u32_e32 v4, vcc, s27, v4
	v_lshlrev_b32_e32 v7, 2, v2
	v_addc_co_u32_e32 v5, vcc, v8, v5, vcc
	s_mov_b64 s[36:37], 0
.LBB1_27:                               ;   Parent Loop BB1_20 Depth=1
                                        ; =>  This Inner Loop Header: Depth=2
	global_load_dword v21, v[4:5], off offset:-2048
	global_load_dword v28, v[4:5], off offset:-1536
	global_load_dword v29, v[4:5], off offset:-1024
	global_load_dword v30, v[4:5], off offset:-512
	global_load_dword v31, v[4:5], off
	global_load_dword v32, v[4:5], off offset:512
	global_load_dword v33, v[4:5], off offset:1024
	global_load_dword v34, v[4:5], off offset:1536
	ds_read2st64_b32 v[8:9], v7 offset1:2
	ds_read2st64_b32 v[22:23], v7 offset0:4 offset1:6
	ds_read2st64_b32 v[24:25], v7 offset0:8 offset1:10
	;; [unrolled: 1-line block ×3, first 2 shown]
	v_add_co_u32_e32 v4, vcc, 0x1000, v4
	v_add_u32_e32 v2, 0x400, v2
	v_addc_co_u32_e32 v5, vcc, 0, v5, vcc
	v_cmp_le_i32_e32 vcc, s20, v2
	v_add_u32_e32 v7, 0x1000, v7
	s_or_b64 s[36:37], vcc, s[36:37]
	s_waitcnt vmcnt(7) lgkmcnt(3)
	v_mul_f32_e32 v8, v8, v21
	s_waitcnt vmcnt(6)
	v_mul_f32_e32 v9, v9, v28
	v_add_f32_e32 v6, v6, v8
	s_waitcnt vmcnt(5) lgkmcnt(2)
	v_mul_f32_e32 v21, v22, v29
	v_add_f32_e32 v6, v6, v9
	s_waitcnt vmcnt(4)
	v_mul_f32_e32 v22, v23, v30
	v_add_f32_e32 v6, v6, v21
	s_waitcnt vmcnt(3) lgkmcnt(1)
	v_mul_f32_e32 v23, v24, v31
	v_add_f32_e32 v6, v6, v22
	;; [unrolled: 6-line block ×3, first 2 shown]
	s_waitcnt vmcnt(0)
	v_mul_f32_e32 v26, v27, v34
	v_add_f32_e32 v6, v6, v25
	v_add_f32_e32 v6, v6, v26
	s_andn2_b64 exec, exec, s[36:37]
	s_cbranch_execnz .LBB1_27
; %bb.28:                               ;   in Loop: Header=BB1_20 Depth=1
	s_or_b64 exec, exec, s[36:37]
.LBB1_29:                               ;   in Loop: Header=BB1_20 Depth=1
	s_or_b64 exec, exec, s[34:35]
.LBB1_30:                               ;   in Loop: Header=BB1_20 Depth=1
	s_or_b64 exec, exec, s[30:31]
	s_and_b64 vcc, exec, s[24:25]
	s_cbranch_vccz .LBB1_37
; %bb.31:                               ;   in Loop: Header=BB1_20 Depth=1
	v_cmp_ne_u32_e32 vcc, 63, v20
	v_addc_co_u32_e32 v2, vcc, 0, v19, vcc
	v_lshlrev_b32_e32 v2, 2, v2
	ds_bpermute_b32 v2, v2, v6
	v_cmp_gt_u32_e32 vcc, 62, v20
	v_cndmask_b32_e64 v4, 0, 1, vcc
	v_lshlrev_b32_e32 v4, 1, v4
	v_add_lshl_u32 v4, v4, v19, 2
	s_waitcnt lgkmcnt(0)
	v_add_f32_e32 v2, v6, v2
	ds_bpermute_b32 v4, v4, v2
	v_cmp_gt_u32_e32 vcc, 60, v20
	v_cndmask_b32_e64 v5, 0, 1, vcc
	v_cmp_gt_u32_e32 vcc, 56, v20
	s_waitcnt lgkmcnt(0)
	v_add_f32_e32 v2, v2, v4
	v_lshlrev_b32_e32 v4, 2, v5
	v_add_lshl_u32 v4, v4, v19, 2
	ds_bpermute_b32 v4, v4, v2
	v_cndmask_b32_e64 v5, 0, 1, vcc
	v_cmp_gt_u32_e32 vcc, 48, v20
	s_waitcnt lgkmcnt(0)
	v_add_f32_e32 v2, v2, v4
	v_lshlrev_b32_e32 v4, 3, v5
	v_add_lshl_u32 v4, v4, v19, 2
	ds_bpermute_b32 v4, v4, v2
	;; [unrolled: 7-line block ×3, first 2 shown]
	v_cndmask_b32_e64 v5, 0, 1, vcc
	s_waitcnt lgkmcnt(0)
	v_add_f32_e32 v2, v2, v4
	v_lshlrev_b32_e32 v4, 5, v5
	v_add_lshl_u32 v4, v4, v19, 2
	ds_bpermute_b32 v4, v4, v2
	s_waitcnt lgkmcnt(0)
	v_add_f32_e32 v4, v2, v4
	s_and_saveexec_b64 s[30:31], s[2:3]
	s_cbranch_execz .LBB1_33
; %bb.32:                               ;   in Loop: Header=BB1_20 Depth=1
	ds_write_b32 v10, v4 offset:8192
.LBB1_33:                               ;   in Loop: Header=BB1_20 Depth=1
	s_or_b64 exec, exec, s[30:31]
	s_mov_b64 s[34:35], 0
	s_mov_b64 s[30:31], 0
	s_waitcnt lgkmcnt(0)
	s_barrier
	s_waitcnt lgkmcnt(0)
                                        ; implicit-def: $vgpr2
	s_and_saveexec_b64 s[36:37], s[4:5]
	s_xor_b64 s[36:37], exec, s[36:37]
	s_cbranch_execz .LBB1_35
; %bb.34:                               ;   in Loop: Header=BB1_20 Depth=1
	ds_read_b32 v2, v3 offset:8196
	s_mov_b64 s[30:31], exec
	s_waitcnt lgkmcnt(0)
	v_add_f32_e32 v2, v4, v2
.LBB1_35:                               ;   in Loop: Header=BB1_20 Depth=1
	s_or_b64 exec, exec, s[36:37]
	s_and_b64 vcc, exec, s[34:35]
	s_cbranch_vccnz .LBB1_38
.LBB1_36:                               ;   in Loop: Header=BB1_20 Depth=1
	v_mov_b32_e32 v6, v2
	s_and_saveexec_b64 s[34:35], s[30:31]
	s_cbranch_execnz .LBB1_39
	s_branch .LBB1_40
.LBB1_37:                               ;   in Loop: Header=BB1_20 Depth=1
	s_mov_b64 s[30:31], 0
                                        ; implicit-def: $vgpr2
	s_cbranch_execz .LBB1_36
.LBB1_38:                               ;   in Loop: Header=BB1_20 Depth=1
	s_andn2_b64 s[30:31], s[30:31], exec
	s_and_b64 s[34:35], s[4:5], exec
	s_or_b64 s[30:31], s[30:31], s[34:35]
	s_and_saveexec_b64 s[34:35], s[30:31]
	s_cbranch_execz .LBB1_40
.LBB1_39:                               ;   in Loop: Header=BB1_20 Depth=1
	ds_write_b32 v3, v6 offset:8192
.LBB1_40:                               ;   in Loop: Header=BB1_20 Depth=1
	s_or_b64 exec, exec, s[34:35]
	s_waitcnt lgkmcnt(0)
	s_barrier
	s_and_saveexec_b64 s[30:31], s[0:1]
	s_cbranch_execz .LBB1_19
; %bb.41:                               ;   in Loop: Header=BB1_20 Depth=1
	global_load_dword v2, v3, s[22:23]
	ds_read_b32 v4, v3 offset:8192
	s_mov_b64 s[36:37], -1
	v_mov_b32_e32 v6, v0
	s_waitcnt vmcnt(0) lgkmcnt(0)
	v_mul_f32_e64 v4, v4, -v2
	v_mov_b32_e32 v2, v14
	s_and_saveexec_b64 s[34:35], s[10:11]
	s_cbranch_execz .LBB1_52
; %bb.42:                               ;   in Loop: Header=BB1_20 Depth=1
	s_mul_i32 s27, s7, s33
	v_mov_b32_e32 v5, v4
	v_mov_b32_e32 v9, 0
	v_pk_mov_b32 v[6:7], v[0:1], v[0:1] op_sel:[0,1]
	s_and_saveexec_b64 s[36:37], s[12:13]
	s_cbranch_execz .LBB1_46
; %bb.43:                               ;   in Loop: Header=BB1_20 Depth=1
	s_mov_b32 s44, 0
	s_mov_b64 s[38:39], 0
	v_mov_b32_e32 v2, v13
	v_mov_b32_e32 v8, v14
	v_pk_mov_b32 v[6:7], v[0:1], v[0:1] op_sel:[0,1]
.LBB1_44:                               ;   Parent Loop BB1_20 Depth=1
                                        ; =>  This Inner Loop Header: Depth=2
	v_add_u32_e32 v22, s27, v6
	v_ashrrev_i32_e32 v23, 31, v22
	v_add_u32_e32 v24, s27, v7
	v_lshlrev_b64 v[26:27], 2, v[22:23]
	v_ashrrev_i32_e32 v25, 31, v24
	v_add_co_u32_e32 v26, vcc, s40, v26
	v_lshlrev_b64 v[28:29], 2, v[24:25]
	v_addc_co_u32_e32 v27, vcc, v15, v27, vcc
	v_add_co_u32_e32 v28, vcc, s40, v28
	v_addc_co_u32_e32 v29, vcc, v15, v29, vcc
	global_load_dword v30, v[26:27], off
	global_load_dword v31, v[28:29], off
	ds_read2st64_b32 v[32:33], v8 offset1:2
	v_add_u32_e32 v34, 0x100, v22
	v_ashrrev_i32_e32 v35, 31, v34
	v_add_u32_e32 v36, 0x100, v24
	v_lshlrev_b64 v[34:35], 2, v[34:35]
	v_ashrrev_i32_e32 v37, 31, v36
	v_add_co_u32_e32 v34, vcc, s40, v34
	v_lshlrev_b64 v[36:37], 2, v[36:37]
	v_addc_co_u32_e32 v35, vcc, v15, v35, vcc
	v_add_co_u32_e32 v36, vcc, s40, v36
	v_addc_co_u32_e32 v37, vcc, v15, v37, vcc
	v_add_u32_e32 v2, -4, v2
	s_add_i32 s44, s44, 8
	v_add_u32_e32 v7, 0x400, v7
	v_add_u32_e32 v6, 0x400, v6
	v_mov_b32_e32 v9, s44
	s_waitcnt vmcnt(0) lgkmcnt(0)
	v_pk_fma_f32 v[30:31], v[4:5], v[32:33], v[30:31]
	global_store_dword v[26:27], v30, off
	global_store_dword v[28:29], v31, off
	global_load_dword v26, v[34:35], off
	s_nop 0
	global_load_dword v27, v[36:37], off
	ds_read2st64_b32 v[28:29], v8 offset0:4 offset1:6
	v_add_u32_e32 v30, 0x200, v22
	v_ashrrev_i32_e32 v31, 31, v30
	v_add_u32_e32 v32, 0x200, v24
	v_lshlrev_b64 v[30:31], 2, v[30:31]
	v_ashrrev_i32_e32 v33, 31, v32
	v_add_co_u32_e32 v30, vcc, s40, v30
	v_lshlrev_b64 v[32:33], 2, v[32:33]
	v_addc_co_u32_e32 v31, vcc, v15, v31, vcc
	v_add_co_u32_e32 v32, vcc, s40, v32
	v_addc_co_u32_e32 v33, vcc, v15, v33, vcc
	v_add_u32_e32 v22, 0x300, v22
	v_ashrrev_i32_e32 v23, 31, v22
	v_add_u32_e32 v24, 0x300, v24
	v_lshlrev_b64 v[22:23], 2, v[22:23]
	v_ashrrev_i32_e32 v25, 31, v24
	v_add_co_u32_e32 v22, vcc, s40, v22
	v_lshlrev_b64 v[24:25], 2, v[24:25]
	v_addc_co_u32_e32 v23, vcc, v15, v23, vcc
	v_add_co_u32_e32 v24, vcc, s40, v24
	v_addc_co_u32_e32 v25, vcc, v15, v25, vcc
	v_cmp_eq_u32_e32 vcc, 0, v2
	s_or_b64 s[38:39], vcc, s[38:39]
	s_waitcnt vmcnt(0) lgkmcnt(0)
	v_pk_fma_f32 v[26:27], v[4:5], v[28:29], v[26:27]
	global_store_dword v[34:35], v26, off
	global_store_dword v[36:37], v27, off
	global_load_dword v26, v[30:31], off
	s_nop 0
	global_load_dword v27, v[32:33], off
	ds_read2st64_b32 v[28:29], v8 offset0:8 offset1:10
	s_waitcnt vmcnt(0) lgkmcnt(0)
	v_pk_fma_f32 v[26:27], v[4:5], v[28:29], v[26:27]
	global_store_dword v[30:31], v26, off
	global_store_dword v[32:33], v27, off
	global_load_dword v26, v[22:23], off
	s_nop 0
	global_load_dword v27, v[24:25], off
	ds_read2st64_b32 v[28:29], v8 offset0:12 offset1:14
	v_add_u32_e32 v8, 0x1000, v8
	s_waitcnt vmcnt(0) lgkmcnt(0)
	v_pk_fma_f32 v[26:27], v[4:5], v[28:29], v[26:27]
	global_store_dword v[22:23], v26, off
	global_store_dword v[24:25], v27, off
	s_andn2_b64 exec, exec, s[38:39]
	s_cbranch_execnz .LBB1_44
; %bb.45:                               ;   in Loop: Header=BB1_20 Depth=1
	s_or_b64 exec, exec, s[38:39]
.LBB1_46:                               ;   in Loop: Header=BB1_20 Depth=1
	s_or_b64 exec, exec, s[36:37]
	s_and_saveexec_b64 s[36:37], s[14:15]
	s_cbranch_execz .LBB1_49
; %bb.47:                               ;   in Loop: Header=BB1_20 Depth=1
	v_lshl_or_b32 v2, v9, 9, v14
	s_mov_b64 s[38:39], 0
	v_mov_b32_e32 v8, v12
.LBB1_48:                               ;   Parent Loop BB1_20 Depth=1
                                        ; =>  This Inner Loop Header: Depth=2
	v_add_u32_e32 v22, s27, v6
	v_ashrrev_i32_e32 v23, 31, v22
	v_add_u32_e32 v24, s27, v7
	v_lshlrev_b64 v[22:23], 2, v[22:23]
	v_mov_b32_e32 v9, s41
	v_ashrrev_i32_e32 v25, 31, v24
	v_add_co_u32_e32 v22, vcc, s40, v22
	v_lshlrev_b64 v[24:25], 2, v[24:25]
	v_addc_co_u32_e32 v23, vcc, v9, v23, vcc
	v_add_co_u32_e32 v24, vcc, s40, v24
	v_addc_co_u32_e32 v25, vcc, v9, v25, vcc
	global_load_dword v26, v[22:23], off
	global_load_dword v27, v[24:25], off
	ds_read2st64_b32 v[28:29], v2 offset1:2
	v_add_u32_e32 v8, -1, v8
	v_cmp_eq_u32_e32 vcc, 0, v8
	v_add_u32_e32 v7, 0x100, v7
	v_add_u32_e32 v6, 0x100, v6
	;; [unrolled: 1-line block ×3, first 2 shown]
	s_or_b64 s[38:39], vcc, s[38:39]
	s_waitcnt vmcnt(0) lgkmcnt(0)
	v_pk_fma_f32 v[26:27], v[4:5], v[28:29], v[26:27]
	global_store_dword v[22:23], v26, off
	global_store_dword v[24:25], v27, off
	s_andn2_b64 exec, exec, s[38:39]
	s_cbranch_execnz .LBB1_48
.LBB1_49:                               ;   in Loop: Header=BB1_20 Depth=1
	s_or_b64 exec, exec, s[36:37]
	s_mov_b64 s[36:37], 0
                                        ; implicit-def: $vgpr2
	s_and_saveexec_b64 s[38:39], s[16:17]
	s_xor_b64 s[38:39], exec, s[38:39]
; %bb.50:                               ;   in Loop: Header=BB1_20 Depth=1
	s_mov_b64 s[36:37], exec
	v_lshlrev_b32_e32 v2, 2, v11
; %bb.51:                               ;   in Loop: Header=BB1_20 Depth=1
	s_or_b64 exec, exec, s[38:39]
	s_orn2_b64 s[36:37], s[36:37], exec
	v_mov_b32_e32 v6, v11
.LBB1_52:                               ;   in Loop: Header=BB1_20 Depth=1
	s_or_b64 exec, exec, s[34:35]
	s_and_b64 exec, exec, s[36:37]
	s_cbranch_execz .LBB1_19
; %bb.53:                               ;   in Loop: Header=BB1_20 Depth=1
	v_ashrrev_i32_e32 v7, 31, v6
	s_add_u32 s27, s40, s28
	v_lshlrev_b64 v[8:9], 2, v[6:7]
	s_addc_u32 s28, s41, s29
	v_mov_b32_e32 v5, s28
	v_add_co_u32_e32 v8, vcc, s27, v8
	v_addc_co_u32_e32 v9, vcc, v5, v9, vcc
	s_mov_b64 s[28:29], 0
.LBB1_54:                               ;   Parent Loop BB1_20 Depth=1
                                        ; =>  This Inner Loop Header: Depth=2
	global_load_dword v5, v[8:9], off
	ds_read_b32 v7, v2
	v_add_u32_e32 v6, 0x80, v6
	v_cmp_le_i32_e32 vcc, s20, v6
	s_or_b64 s[28:29], vcc, s[28:29]
	v_add_u32_e32 v2, 0x200, v2
	s_waitcnt vmcnt(0) lgkmcnt(0)
	v_fmac_f32_e32 v5, v4, v7
	global_store_dword v[8:9], v5, off
	v_add_co_u32_e32 v8, vcc, 0x200, v8
	v_addc_co_u32_e32 v9, vcc, 0, v9, vcc
	s_andn2_b64 exec, exec, s[28:29]
	s_cbranch_execnz .LBB1_54
	s_branch .LBB1_19
.LBB1_55:
	s_endpgm
	.section	.rodata,"a",@progbits
	.p2align	6, 0x0
	.amdhsa_kernel _ZN9rocsolver6v33100L22larf_left_kernel_smallILi128EfiPfEEvT1_S3_T2_lS3_lPKT0_lS4_lS3_l
		.amdhsa_group_segment_fixed_size 8704
		.amdhsa_private_segment_fixed_size 0
		.amdhsa_kernarg_size 88
		.amdhsa_user_sgpr_count 6
		.amdhsa_user_sgpr_private_segment_buffer 1
		.amdhsa_user_sgpr_dispatch_ptr 0
		.amdhsa_user_sgpr_queue_ptr 0
		.amdhsa_user_sgpr_kernarg_segment_ptr 1
		.amdhsa_user_sgpr_dispatch_id 0
		.amdhsa_user_sgpr_flat_scratch_init 0
		.amdhsa_user_sgpr_kernarg_preload_length 0
		.amdhsa_user_sgpr_kernarg_preload_offset 0
		.amdhsa_user_sgpr_private_segment_size 0
		.amdhsa_uses_dynamic_stack 0
		.amdhsa_system_sgpr_private_segment_wavefront_offset 0
		.amdhsa_system_sgpr_workgroup_id_x 1
		.amdhsa_system_sgpr_workgroup_id_y 1
		.amdhsa_system_sgpr_workgroup_id_z 0
		.amdhsa_system_sgpr_workgroup_info 0
		.amdhsa_system_vgpr_workitem_id 0
		.amdhsa_next_free_vgpr 38
		.amdhsa_next_free_sgpr 45
		.amdhsa_accum_offset 40
		.amdhsa_reserve_vcc 1
		.amdhsa_reserve_flat_scratch 0
		.amdhsa_float_round_mode_32 0
		.amdhsa_float_round_mode_16_64 0
		.amdhsa_float_denorm_mode_32 3
		.amdhsa_float_denorm_mode_16_64 3
		.amdhsa_dx10_clamp 1
		.amdhsa_ieee_mode 1
		.amdhsa_fp16_overflow 0
		.amdhsa_tg_split 0
		.amdhsa_exception_fp_ieee_invalid_op 0
		.amdhsa_exception_fp_denorm_src 0
		.amdhsa_exception_fp_ieee_div_zero 0
		.amdhsa_exception_fp_ieee_overflow 0
		.amdhsa_exception_fp_ieee_underflow 0
		.amdhsa_exception_fp_ieee_inexact 0
		.amdhsa_exception_int_div_zero 0
	.end_amdhsa_kernel
	.section	.text._ZN9rocsolver6v33100L22larf_left_kernel_smallILi128EfiPfEEvT1_S3_T2_lS3_lPKT0_lS4_lS3_l,"axG",@progbits,_ZN9rocsolver6v33100L22larf_left_kernel_smallILi128EfiPfEEvT1_S3_T2_lS3_lPKT0_lS4_lS3_l,comdat
.Lfunc_end1:
	.size	_ZN9rocsolver6v33100L22larf_left_kernel_smallILi128EfiPfEEvT1_S3_T2_lS3_lPKT0_lS4_lS3_l, .Lfunc_end1-_ZN9rocsolver6v33100L22larf_left_kernel_smallILi128EfiPfEEvT1_S3_T2_lS3_lPKT0_lS4_lS3_l
                                        ; -- End function
	.section	.AMDGPU.csdata,"",@progbits
; Kernel info:
; codeLenInByte = 3368
; NumSgprs: 49
; NumVgprs: 38
; NumAgprs: 0
; TotalNumVgprs: 38
; ScratchSize: 0
; MemoryBound: 0
; FloatMode: 240
; IeeeMode: 1
; LDSByteSize: 8704 bytes/workgroup (compile time only)
; SGPRBlocks: 6
; VGPRBlocks: 4
; NumSGPRsForWavesPerEU: 49
; NumVGPRsForWavesPerEU: 38
; AccumOffset: 40
; Occupancy: 4
; WaveLimiterHint : 1
; COMPUTE_PGM_RSRC2:SCRATCH_EN: 0
; COMPUTE_PGM_RSRC2:USER_SGPR: 6
; COMPUTE_PGM_RSRC2:TRAP_HANDLER: 0
; COMPUTE_PGM_RSRC2:TGID_X_EN: 1
; COMPUTE_PGM_RSRC2:TGID_Y_EN: 1
; COMPUTE_PGM_RSRC2:TGID_Z_EN: 0
; COMPUTE_PGM_RSRC2:TIDIG_COMP_CNT: 0
; COMPUTE_PGM_RSRC3_GFX90A:ACCUM_OFFSET: 9
; COMPUTE_PGM_RSRC3_GFX90A:TG_SPLIT: 0
	.section	.text._ZN9rocsolver6v33100L22larf_left_kernel_smallILi256EfiPfEEvT1_S3_T2_lS3_lPKT0_lS4_lS3_l,"axG",@progbits,_ZN9rocsolver6v33100L22larf_left_kernel_smallILi256EfiPfEEvT1_S3_T2_lS3_lPKT0_lS4_lS3_l,comdat
	.globl	_ZN9rocsolver6v33100L22larf_left_kernel_smallILi256EfiPfEEvT1_S3_T2_lS3_lPKT0_lS4_lS3_l ; -- Begin function _ZN9rocsolver6v33100L22larf_left_kernel_smallILi256EfiPfEEvT1_S3_T2_lS3_lPKT0_lS4_lS3_l
	.p2align	8
	.type	_ZN9rocsolver6v33100L22larf_left_kernel_smallILi256EfiPfEEvT1_S3_T2_lS3_lPKT0_lS4_lS3_l,@function
_ZN9rocsolver6v33100L22larf_left_kernel_smallILi256EfiPfEEvT1_S3_T2_lS3_lPKT0_lS4_lS3_l: ; @_ZN9rocsolver6v33100L22larf_left_kernel_smallILi256EfiPfEEvT1_S3_T2_lS3_lPKT0_lS4_lS3_l
; %bb.0:
	s_load_dwordx2 s[22:23], s[4:5], 0x0
	s_load_dwordx8 s[8:15], s[4:5], 0x20
	s_load_dwordx2 s[16:17], s[4:5], 0x40
	s_ashr_i32 s26, s6, 31
	s_waitcnt lgkmcnt(0)
	v_cmp_gt_i32_e64 s[0:1], s22, v0
	v_xad_u32 v4, v0, -1, s22
	s_and_saveexec_b64 s[18:19], s[0:1]
	s_cbranch_execz .LBB2_17
; %bb.1:
	s_load_dwordx4 s[36:39], s[4:5], 0x8
	s_load_dword s28, s[4:5], 0x18
	s_mul_i32 s2, s6, s9
	s_mul_hi_u32 s3, s6, s8
	s_add_i32 s2, s3, s2
	s_mul_i32 s3, s26, s8
	s_add_i32 s3, s2, s3
	s_mul_i32 s2, s6, s8
	s_lshl_b64 s[2:3], s[2:3], 2
	s_waitcnt lgkmcnt(0)
	s_add_u32 s8, s36, s2
	s_addc_u32 s9, s37, s3
	s_lshl_b64 s[2:3], s[38:39], 2
	s_add_u32 s27, s8, s2
	s_addc_u32 s29, s9, s3
	s_sub_i32 s2, 1, s22
	s_mul_i32 s2, s2, s28
	s_cmp_lt_i32 s28, 1
	s_cselect_b32 s30, s2, 0
	s_movk_i32 s2, 0x16ff
	v_cmp_lt_u32_e32 vcc, s2, v4
	s_mov_b64 s[2:3], 0
                                        ; implicit-def: $vgpr1
                                        ; implicit-def: $sgpr31
	s_and_saveexec_b64 s[8:9], vcc
	s_xor_b64 s[20:21], exec, s[8:9]
	s_cbranch_execnz .LBB2_4
; %bb.2:
	s_or_saveexec_b64 s[8:9], s[20:21]
	v_mov_b32_e32 v5, s31
	s_xor_b64 exec, exec, s[8:9]
	s_cbranch_execnz .LBB2_14
.LBB2_3:
	s_or_b64 exec, exec, s[8:9]
	s_and_b64 exec, exec, s[2:3]
	s_cbranch_execnz .LBB2_15
	s_branch .LBB2_17
.LBB2_4:
	s_lshl_b32 s31, s28, 8
	s_sub_i32 s8, 0, s31
	s_cmp_lt_i32 s31, 0
	s_cselect_b64 vcc, -1, 0
	s_and_b64 s[2:3], vcc, exec
	v_lshrrev_b32_e32 v5, 8, v4
	s_cselect_b32 s8, s8, s31
	v_mul_lo_u32 v1, v0, s28
	v_mul_hi_u32 v2, s8, v5
	v_add_u32_e32 v1, s30, v1
	v_cmp_eq_u32_e64 s[2:3], 0, v2
	v_mul_lo_u32 v2, s8, v5
	v_add_u32_e32 v3, v1, v2
	v_sub_u32_e32 v2, v1, v2
	v_cmp_gt_i32_e64 s[8:9], v2, v1
	v_cndmask_b32_e64 v2, 0, 1, s[8:9]
	v_cmp_lt_i32_e64 s[8:9], v3, v1
	v_cndmask_b32_e64 v1, 0, 1, s[8:9]
	v_cndmask_b32_e32 v1, v1, v2, vcc
	v_and_b32_e32 v1, 1, v1
	v_cmp_eq_u32_e32 vcc, 1, v1
	s_xor_b64 s[24:25], vcc, -1
	s_mov_b64 s[8:9], -1
	s_and_b64 s[24:25], s[24:25], s[2:3]
	v_mov_b32_e32 v1, v0
	s_and_saveexec_b64 s[2:3], s[24:25]
	s_cbranch_execz .LBB2_13
; %bb.5:
	v_add_u32_e32 v2, -1, v5
	v_or_b32_e32 v1, 0x100, v0
	v_lshrrev_b32_e32 v3, 1, v2
	v_add_u32_e32 v6, 1, v3
	v_cmp_lt_u32_e32 vcc, 5, v2
	v_mov_b32_e32 v10, 0
	v_pk_mov_b32 v[2:3], v[0:1], v[0:1] op_sel:[0,1]
	s_and_saveexec_b64 s[8:9], vcc
	s_cbranch_execz .LBB2_9
; %bb.6:
	v_and_b32_e32 v7, -4, v6
	v_lshlrev_b32_e32 v8, 2, v0
	s_mov_b32 s33, 0
	s_mov_b64 s[24:25], 0
	v_mov_b32_e32 v9, s29
	v_pk_mov_b32 v[2:3], v[0:1], v[0:1] op_sel:[0,1]
.LBB2_7:                                ; =>This Inner Loop Header: Depth=1
	v_mul_lo_u32 v10, v2, s28
	v_add_u32_e32 v11, 0x200, v2
	v_add_u32_e32 v10, s30, v10
	v_mul_lo_u32 v1, v3, s28
	v_mul_lo_u32 v18, v11, s28
	v_ashrrev_i32_e32 v11, 31, v10
	v_add_u32_e32 v13, 0x200, v3
	v_add_u32_e32 v12, s30, v1
	v_lshlrev_b64 v[10:11], 2, v[10:11]
	v_add_u32_e32 v14, 0x400, v2
	v_add_u32_e32 v15, 0x400, v3
	v_mul_lo_u32 v1, v13, s28
	v_ashrrev_i32_e32 v13, 31, v12
	v_add_co_u32_e32 v10, vcc, s27, v10
	v_mul_lo_u32 v15, v15, s28
	v_mul_lo_u32 v19, v14, s28
	v_add_u32_e32 v14, s30, v18
	v_lshlrev_b64 v[12:13], 2, v[12:13]
	v_addc_co_u32_e32 v11, vcc, v9, v11, vcc
	v_add_u32_e32 v16, 0x600, v2
	v_add_u32_e32 v17, 0x600, v3
	;; [unrolled: 1-line block ×3, first 2 shown]
	v_ashrrev_i32_e32 v15, 31, v14
	v_add_co_u32_e32 v12, vcc, s27, v12
	v_mul_lo_u32 v17, v17, s28
	v_mul_lo_u32 v21, v16, s28
	v_add_u32_e32 v16, s30, v1
	v_addc_co_u32_e32 v13, vcc, v9, v13, vcc
	v_lshlrev_b64 v[14:15], 2, v[14:15]
	v_add_u32_e32 v24, s30, v17
	v_ashrrev_i32_e32 v17, 31, v16
	v_add_co_u32_e32 v14, vcc, s27, v14
	v_add_u32_e32 v18, s30, v19
	v_lshlrev_b64 v[16:17], 2, v[16:17]
	v_addc_co_u32_e32 v15, vcc, v9, v15, vcc
	v_ashrrev_i32_e32 v19, 31, v18
	v_add_co_u32_e32 v16, vcc, s27, v16
	v_lshlrev_b64 v[18:19], 2, v[18:19]
	v_addc_co_u32_e32 v17, vcc, v9, v17, vcc
	v_add_u32_e32 v22, s30, v21
	v_ashrrev_i32_e32 v21, 31, v20
	v_add_co_u32_e32 v18, vcc, s27, v18
	v_lshlrev_b64 v[20:21], 2, v[20:21]
	v_addc_co_u32_e32 v19, vcc, v9, v19, vcc
	v_ashrrev_i32_e32 v23, 31, v22
	v_add_co_u32_e32 v20, vcc, s27, v20
	v_lshlrev_b64 v[22:23], 2, v[22:23]
	v_addc_co_u32_e32 v21, vcc, v9, v21, vcc
	;; [unrolled: 4-line block ×3, first 2 shown]
	v_add_co_u32_e32 v24, vcc, s27, v24
	v_addc_co_u32_e32 v25, vcc, v9, v25, vcc
	global_load_dword v1, v[10:11], off
	global_load_dword v26, v[12:13], off
	;; [unrolled: 1-line block ×8, first 2 shown]
	v_add_u32_e32 v7, -4, v7
	s_add_i32 s33, s33, 8
	v_cmp_eq_u32_e32 vcc, 0, v7
	v_add_u32_e32 v3, 0x800, v3
	v_add_u32_e32 v2, 0x800, v2
	v_mov_b32_e32 v10, s33
	s_or_b64 s[24:25], vcc, s[24:25]
	s_waitcnt vmcnt(6)
	ds_write2st64_b32 v8, v1, v26 offset1:4
	s_waitcnt vmcnt(4)
	ds_write2st64_b32 v8, v27, v28 offset0:8 offset1:12
	s_waitcnt vmcnt(2)
	ds_write2st64_b32 v8, v29, v30 offset0:16 offset1:20
	;; [unrolled: 2-line block ×3, first 2 shown]
	v_add_u32_e32 v8, 0x2000, v8
	s_andn2_b64 exec, exec, s[24:25]
	s_cbranch_execnz .LBB2_7
; %bb.8:
	s_or_b64 exec, exec, s[24:25]
.LBB2_9:
	s_or_b64 exec, exec, s[8:9]
	v_and_b32_e32 v1, 3, v6
	v_cmp_ne_u32_e32 vcc, 0, v1
	s_and_saveexec_b64 s[8:9], vcc
	s_cbranch_execz .LBB2_12
; %bb.10:
	v_lshlrev_b32_e32 v6, 2, v0
	v_lshl_or_b32 v6, v10, 10, v6
	s_mov_b64 s[24:25], 0
	v_mov_b32_e32 v7, s29
.LBB2_11:                               ; =>This Inner Loop Header: Depth=1
	v_mul_lo_u32 v8, v2, s28
	v_mul_lo_u32 v9, v3, s28
	v_add_u32_e32 v8, s30, v8
	v_add_u32_e32 v10, s30, v9
	v_ashrrev_i32_e32 v9, 31, v8
	v_lshlrev_b64 v[8:9], 2, v[8:9]
	v_ashrrev_i32_e32 v11, 31, v10
	v_add_co_u32_e32 v8, vcc, s27, v8
	v_lshlrev_b64 v[10:11], 2, v[10:11]
	v_addc_co_u32_e32 v9, vcc, v7, v9, vcc
	v_add_co_u32_e32 v10, vcc, s27, v10
	v_addc_co_u32_e32 v11, vcc, v7, v11, vcc
	global_load_dword v12, v[8:9], off
	global_load_dword v13, v[10:11], off
	v_add_u32_e32 v1, -1, v1
	v_cmp_eq_u32_e32 vcc, 0, v1
	v_add_u32_e32 v3, 0x200, v3
	v_add_u32_e32 v2, 0x200, v2
	s_or_b64 s[24:25], vcc, s[24:25]
	s_waitcnt vmcnt(0)
	ds_write2st64_b32 v6, v12, v13 offset1:4
	v_add_u32_e32 v6, 0x800, v6
	s_andn2_b64 exec, exec, s[24:25]
	s_cbranch_execnz .LBB2_11
.LBB2_12:
	s_or_b64 exec, exec, s[8:9]
	v_add_u32_e32 v2, 1, v5
	v_and_b32_e32 v3, 0x1fffffe, v2
	v_cmp_ne_u32_e32 vcc, v2, v3
	v_lshl_or_b32 v1, v3, 8, v0
	s_orn2_b64 s[8:9], vcc, exec
.LBB2_13:
	s_or_b64 exec, exec, s[2:3]
	s_and_b64 s[2:3], s[8:9], exec
	s_or_saveexec_b64 s[8:9], s[20:21]
	v_mov_b32_e32 v5, s31
	s_xor_b64 exec, exec, s[8:9]
	s_cbranch_execz .LBB2_3
.LBB2_14:
	s_lshl_b32 s20, s28, 8
	v_mov_b32_e32 v5, s20
	s_or_b64 s[2:3], s[2:3], exec
	v_mov_b32_e32 v1, v0
	s_or_b64 exec, exec, s[8:9]
	s_and_b64 exec, exec, s[2:3]
	s_cbranch_execz .LBB2_17
.LBB2_15:
	v_mul_lo_u32 v2, v1, s28
	v_add_u32_e32 v2, s30, v2
	v_lshlrev_b32_e32 v6, 2, v1
	s_mov_b64 s[2:3], 0
	v_mov_b32_e32 v7, s29
.LBB2_16:                               ; =>This Inner Loop Header: Depth=1
	v_ashrrev_i32_e32 v3, 31, v2
	v_lshlrev_b64 v[8:9], 2, v[2:3]
	v_add_co_u32_e32 v8, vcc, s27, v8
	v_addc_co_u32_e32 v9, vcc, v7, v9, vcc
	global_load_dword v3, v[8:9], off
	v_add_u32_e32 v1, 0x100, v1
	v_cmp_le_i32_e32 vcc, s22, v1
	v_add_u32_e32 v2, v2, v5
	s_or_b64 s[2:3], vcc, s[2:3]
	s_waitcnt vmcnt(0)
	ds_write_b32 v6, v3
	v_add_u32_e32 v6, 0x400, v6
	s_andn2_b64 exec, exec, s[2:3]
	s_cbranch_execnz .LBB2_16
.LBB2_17:
	s_or_b64 exec, exec, s[18:19]
	s_cmp_ge_i32 s7, s23
	s_waitcnt lgkmcnt(0)
	s_barrier
	s_cbranch_scc1 .LBB2_55
; %bb.18:
	s_load_dwordx2 s[2:3], s[4:5], 0x50
	s_load_dword s33, s[4:5], 0x48
	v_and_b32_e32 v1, 63, v0
	v_lshlrev_b32_e32 v14, 2, v0
	v_lshrrev_b32_e32 v10, 4, v0
	s_waitcnt lgkmcnt(0)
	s_mul_i32 s3, s6, s3
	s_mul_hi_u32 s4, s6, s2
	s_mul_i32 s5, s26, s2
	s_add_i32 s3, s4, s3
	s_mul_i32 s2, s6, s2
	s_add_i32 s3, s3, s5
	s_lshl_b64 s[2:3], s[2:3], 2
	s_lshl_b64 s[4:5], s[16:17], 2
	s_add_u32 s2, s2, s4
	s_addc_u32 s3, s3, s5
	s_add_u32 s40, s14, s2
	s_addc_u32 s41, s15, s3
	s_mul_i32 s2, s6, s13
	s_mul_hi_u32 s3, s6, s12
	s_add_i32 s2, s3, s2
	s_mul_i32 s3, s26, s12
	s_add_i32 s3, s2, s3
	s_mul_i32 s2, s6, s12
	s_lshl_b64 s[2:3], s[2:3], 2
	s_add_u32 s24, s10, s2
	s_addc_u32 s25, s11, s3
	v_cmp_eq_u32_e64 s[2:3], 0, v1
	v_lshrrev_b32_e32 v1, 8, v4
	s_movk_i32 s6, 0x6ff
	v_add_u32_e32 v2, 1, v1
	v_cmp_lt_u32_e64 s[8:9], s6, v4
	s_movk_i32 s6, 0xff
	v_add_u32_e32 v3, -1, v1
	v_cmp_lt_u32_e64 s[10:11], s6, v4
	v_and_b32_e32 v4, 0x1fffffe, v2
	s_cmp_gt_i32 s22, 1
	v_lshrrev_b32_e32 v1, 1, v3
	v_and_b32_e32 v6, 7, v2
	v_cmp_ne_u32_e64 s[16:17], v2, v4
	v_mov_b32_e32 v2, s41
	v_add_co_u32_e32 v15, vcc, s40, v14
	s_cselect_b64 s[26:27], -1, 0
	v_add_u32_e32 v5, 1, v1
	v_addc_co_u32_e32 v16, vcc, 0, v2, vcc
	s_lshl_b32 s6, s33, 6
	v_mbcnt_lo_u32_b32 v2, -1, 0
	v_and_b32_e32 v12, 3, v5
	s_add_u32 s42, s40, 0x1c00
	v_mbcnt_hi_u32_b32 v19, -1, v2
	v_cmp_eq_u32_e64 s[4:5], 0, v0
	v_cmp_ne_u32_e64 s[18:19], 0, v6
	v_lshl_or_b32 v11, v4, 8, v0
	v_or_b32_e32 v1, 0x100, v0
	v_cmp_lt_u32_e64 s[12:13], 5, v3
	v_and_b32_e32 v13, -4, v5
	v_cmp_ne_u32_e64 s[14:15], 0, v12
	v_mov_b32_e32 v3, 0
	s_mul_i32 s28, s7, s33
	v_lshlrev_b32_e32 v17, 2, v6
	s_addc_u32 s43, s41, 0
	v_mov_b32_e32 v18, 0x2004
	v_and_b32_e32 v20, 63, v19
	s_branch .LBB2_20
.LBB2_19:                               ;   in Loop: Header=BB2_20 Depth=1
	s_or_b64 exec, exec, s[20:21]
	s_add_i32 s7, s7, 64
	s_add_i32 s28, s28, s6
	s_cmp_ge_i32 s7, s23
	s_cbranch_scc1 .LBB2_55
.LBB2_20:                               ; =>This Loop Header: Depth=1
                                        ;     Child Loop BB2_23 Depth 2
                                        ;     Child Loop BB2_27 Depth 2
	;; [unrolled: 1-line block ×5, first 2 shown]
	s_ashr_i32 s29, s28, 31
	s_lshl_b64 s[30:31], s[28:29], 2
	v_mov_b32_e32 v6, 0
	s_and_saveexec_b64 s[34:35], s[0:1]
	s_cbranch_execz .LBB2_30
; %bb.21:                               ;   in Loop: Header=BB2_20 Depth=1
	v_mov_b32_e32 v6, 0
	v_mov_b32_e32 v2, v0
	s_and_saveexec_b64 s[20:21], s[18:19]
	s_cbranch_execz .LBB2_25
; %bb.22:                               ;   in Loop: Header=BB2_20 Depth=1
	v_mov_b32_e32 v2, s31
	v_add_co_u32_e32 v4, vcc, s30, v15
	v_addc_co_u32_e32 v5, vcc, v16, v2, vcc
	s_mov_b64 s[36:37], 0
	v_mov_b32_e32 v6, 0
	v_mov_b32_e32 v7, v17
	;; [unrolled: 1-line block ×4, first 2 shown]
.LBB2_23:                               ;   Parent Loop BB2_20 Depth=1
                                        ; =>  This Inner Loop Header: Depth=2
	global_load_dword v9, v[4:5], off
	ds_read_b32 v21, v8
	v_add_co_u32_e32 v4, vcc, 0x400, v4
	v_add_u32_e32 v7, -4, v7
	v_addc_co_u32_e32 v5, vcc, 0, v5, vcc
	v_cmp_eq_u32_e32 vcc, 0, v7
	v_add_u32_e32 v2, 0x100, v2
	v_add_u32_e32 v8, 0x400, v8
	s_or_b64 s[36:37], vcc, s[36:37]
	s_waitcnt vmcnt(0) lgkmcnt(0)
	v_mul_f32_e32 v9, v21, v9
	v_add_f32_e32 v6, v6, v9
	s_andn2_b64 exec, exec, s[36:37]
	s_cbranch_execnz .LBB2_23
; %bb.24:                               ;   in Loop: Header=BB2_20 Depth=1
	s_or_b64 exec, exec, s[36:37]
.LBB2_25:                               ;   in Loop: Header=BB2_20 Depth=1
	s_or_b64 exec, exec, s[20:21]
	s_and_saveexec_b64 s[36:37], s[8:9]
	s_cbranch_execz .LBB2_29
; %bb.26:                               ;   in Loop: Header=BB2_20 Depth=1
	s_add_u32 s20, s42, s30
	v_lshlrev_b64 v[4:5], 2, v[2:3]
	s_addc_u32 s21, s43, s31
	v_mov_b32_e32 v7, s21
	v_add_co_u32_e32 v4, vcc, s20, v4
	v_addc_co_u32_e32 v5, vcc, v7, v5, vcc
	v_lshlrev_b32_e32 v7, 2, v2
	s_mov_b64 s[38:39], 0
.LBB2_27:                               ;   Parent Loop BB2_20 Depth=1
                                        ; =>  This Inner Loop Header: Depth=2
	v_add_co_u32_e32 v8, vcc, 0xfffff000, v4
	v_addc_co_u32_e32 v9, vcc, -1, v5, vcc
	global_load_dword v21, v[8:9], off offset:-3072
	global_load_dword v28, v[8:9], off offset:-2048
	global_load_dword v29, v[8:9], off offset:-1024
	global_load_dword v30, v[4:5], off offset:-4096
	global_load_dword v31, v[4:5], off offset:-3072
	global_load_dword v32, v[4:5], off offset:-2048
	global_load_dword v33, v[4:5], off offset:-1024
	global_load_dword v34, v[4:5], off
	ds_read2st64_b32 v[8:9], v7 offset1:4
	ds_read2st64_b32 v[22:23], v7 offset0:8 offset1:12
	ds_read2st64_b32 v[24:25], v7 offset0:16 offset1:20
	ds_read2st64_b32 v[26:27], v7 offset0:24 offset1:28
	v_add_u32_e32 v2, 0x800, v2
	v_cmp_le_i32_e64 s[20:21], s22, v2
	v_add_co_u32_e32 v4, vcc, 0x2000, v4
	v_add_u32_e32 v7, 0x2000, v7
	s_or_b64 s[38:39], s[20:21], s[38:39]
	v_addc_co_u32_e32 v5, vcc, 0, v5, vcc
	s_waitcnt vmcnt(7) lgkmcnt(3)
	v_mul_f32_e32 v8, v8, v21
	s_waitcnt vmcnt(6)
	v_mul_f32_e32 v9, v9, v28
	v_add_f32_e32 v6, v6, v8
	s_waitcnt vmcnt(5) lgkmcnt(2)
	v_mul_f32_e32 v21, v22, v29
	v_add_f32_e32 v6, v6, v9
	s_waitcnt vmcnt(4)
	v_mul_f32_e32 v22, v23, v30
	v_add_f32_e32 v6, v6, v21
	s_waitcnt vmcnt(3) lgkmcnt(1)
	v_mul_f32_e32 v23, v24, v31
	v_add_f32_e32 v6, v6, v22
	;; [unrolled: 6-line block ×3, first 2 shown]
	s_waitcnt vmcnt(0)
	v_mul_f32_e32 v26, v27, v34
	v_add_f32_e32 v6, v6, v25
	v_add_f32_e32 v6, v6, v26
	s_andn2_b64 exec, exec, s[38:39]
	s_cbranch_execnz .LBB2_27
; %bb.28:                               ;   in Loop: Header=BB2_20 Depth=1
	s_or_b64 exec, exec, s[38:39]
.LBB2_29:                               ;   in Loop: Header=BB2_20 Depth=1
	s_or_b64 exec, exec, s[36:37]
.LBB2_30:                               ;   in Loop: Header=BB2_20 Depth=1
	s_or_b64 exec, exec, s[34:35]
	s_and_b64 vcc, exec, s[26:27]
	s_cbranch_vccz .LBB2_37
; %bb.31:                               ;   in Loop: Header=BB2_20 Depth=1
	v_cmp_ne_u32_e32 vcc, 63, v20
	v_addc_co_u32_e32 v2, vcc, 0, v19, vcc
	v_lshlrev_b32_e32 v2, 2, v2
	ds_bpermute_b32 v2, v2, v6
	v_cmp_gt_u32_e32 vcc, 62, v20
	v_cndmask_b32_e64 v4, 0, 1, vcc
	v_lshlrev_b32_e32 v4, 1, v4
	v_add_lshl_u32 v4, v4, v19, 2
	s_waitcnt lgkmcnt(0)
	v_add_f32_e32 v2, v6, v2
	ds_bpermute_b32 v4, v4, v2
	v_cmp_gt_u32_e32 vcc, 60, v20
	v_cndmask_b32_e64 v5, 0, 1, vcc
	v_cmp_gt_u32_e32 vcc, 56, v20
	s_waitcnt lgkmcnt(0)
	v_add_f32_e32 v2, v2, v4
	v_lshlrev_b32_e32 v4, 2, v5
	v_add_lshl_u32 v4, v4, v19, 2
	ds_bpermute_b32 v4, v4, v2
	v_cndmask_b32_e64 v5, 0, 1, vcc
	v_cmp_gt_u32_e32 vcc, 48, v20
	s_waitcnt lgkmcnt(0)
	v_add_f32_e32 v2, v2, v4
	v_lshlrev_b32_e32 v4, 3, v5
	v_add_lshl_u32 v4, v4, v19, 2
	ds_bpermute_b32 v4, v4, v2
	;; [unrolled: 7-line block ×3, first 2 shown]
	v_cndmask_b32_e64 v5, 0, 1, vcc
	s_waitcnt lgkmcnt(0)
	v_add_f32_e32 v2, v2, v4
	v_lshlrev_b32_e32 v4, 5, v5
	v_add_lshl_u32 v4, v4, v19, 2
	ds_bpermute_b32 v4, v4, v2
	s_waitcnt lgkmcnt(0)
	v_add_f32_e32 v4, v2, v4
	s_and_saveexec_b64 s[20:21], s[2:3]
	s_cbranch_execz .LBB2_33
; %bb.32:                               ;   in Loop: Header=BB2_20 Depth=1
	ds_write_b32 v10, v4 offset:8192
.LBB2_33:                               ;   in Loop: Header=BB2_20 Depth=1
	s_or_b64 exec, exec, s[20:21]
	s_mov_b64 s[34:35], 0
	s_mov_b64 s[20:21], 0
	s_waitcnt lgkmcnt(0)
	s_barrier
	s_waitcnt lgkmcnt(0)
                                        ; implicit-def: $vgpr2
	s_and_saveexec_b64 s[36:37], s[4:5]
	s_xor_b64 s[36:37], exec, s[36:37]
	s_cbranch_execz .LBB2_35
; %bb.34:                               ;   in Loop: Header=BB2_20 Depth=1
	ds_read2_b32 v[8:9], v18 offset1:1
	ds_read_b32 v2, v3 offset:8204
	s_mov_b64 s[20:21], exec
	s_waitcnt lgkmcnt(1)
	v_add_f32_e32 v4, v4, v8
	v_add_f32_e32 v4, v4, v9
	s_waitcnt lgkmcnt(0)
	v_add_f32_e32 v2, v4, v2
.LBB2_35:                               ;   in Loop: Header=BB2_20 Depth=1
	s_or_b64 exec, exec, s[36:37]
	s_and_b64 vcc, exec, s[34:35]
	s_cbranch_vccnz .LBB2_38
.LBB2_36:                               ;   in Loop: Header=BB2_20 Depth=1
	v_mov_b32_e32 v6, v2
	s_and_saveexec_b64 s[34:35], s[20:21]
	s_cbranch_execnz .LBB2_39
	s_branch .LBB2_40
.LBB2_37:                               ;   in Loop: Header=BB2_20 Depth=1
	s_mov_b64 s[20:21], 0
                                        ; implicit-def: $vgpr2
	s_cbranch_execz .LBB2_36
.LBB2_38:                               ;   in Loop: Header=BB2_20 Depth=1
	s_andn2_b64 s[20:21], s[20:21], exec
	s_and_b64 s[34:35], s[4:5], exec
	s_or_b64 s[20:21], s[20:21], s[34:35]
	s_and_saveexec_b64 s[34:35], s[20:21]
	s_cbranch_execz .LBB2_40
.LBB2_39:                               ;   in Loop: Header=BB2_20 Depth=1
	ds_write_b32 v3, v6 offset:8192
.LBB2_40:                               ;   in Loop: Header=BB2_20 Depth=1
	s_or_b64 exec, exec, s[34:35]
	s_waitcnt lgkmcnt(0)
	s_barrier
	s_and_saveexec_b64 s[20:21], s[0:1]
	s_cbranch_execz .LBB2_19
; %bb.41:                               ;   in Loop: Header=BB2_20 Depth=1
	global_load_dword v2, v3, s[24:25]
	ds_read_b32 v4, v3 offset:8192
	s_mov_b64 s[36:37], -1
	v_mov_b32_e32 v6, v0
	s_waitcnt vmcnt(0) lgkmcnt(0)
	v_mul_f32_e64 v4, v4, -v2
	v_mov_b32_e32 v2, v14
	s_and_saveexec_b64 s[34:35], s[10:11]
	s_cbranch_execz .LBB2_52
; %bb.42:                               ;   in Loop: Header=BB2_20 Depth=1
	s_mul_i32 s29, s7, s33
	v_mov_b32_e32 v5, v4
	v_mov_b32_e32 v9, 0
	v_pk_mov_b32 v[6:7], v[0:1], v[0:1] op_sel:[0,1]
	s_and_saveexec_b64 s[36:37], s[12:13]
	s_cbranch_execz .LBB2_46
; %bb.43:                               ;   in Loop: Header=BB2_20 Depth=1
	s_mov_b32 s44, 0
	s_mov_b64 s[38:39], 0
	v_mov_b32_e32 v2, v13
	v_mov_b32_e32 v8, v14
	v_pk_mov_b32 v[6:7], v[0:1], v[0:1] op_sel:[0,1]
.LBB2_44:                               ;   Parent Loop BB2_20 Depth=1
                                        ; =>  This Inner Loop Header: Depth=2
	v_add_u32_e32 v22, s29, v6
	v_ashrrev_i32_e32 v23, 31, v22
	v_add_u32_e32 v24, s29, v7
	v_lshlrev_b64 v[26:27], 2, v[22:23]
	v_mov_b32_e32 v9, s41
	v_ashrrev_i32_e32 v25, 31, v24
	v_add_co_u32_e32 v26, vcc, s40, v26
	v_lshlrev_b64 v[28:29], 2, v[24:25]
	v_addc_co_u32_e32 v27, vcc, v9, v27, vcc
	v_add_co_u32_e32 v28, vcc, s40, v28
	v_addc_co_u32_e32 v29, vcc, v9, v29, vcc
	global_load_dword v30, v[26:27], off
	global_load_dword v31, v[28:29], off
	ds_read2st64_b32 v[32:33], v8 offset1:4
	v_add_u32_e32 v34, 0x200, v22
	v_ashrrev_i32_e32 v35, 31, v34
	v_add_u32_e32 v36, 0x200, v24
	v_lshlrev_b64 v[34:35], 2, v[34:35]
	v_ashrrev_i32_e32 v37, 31, v36
	v_add_co_u32_e32 v34, vcc, s40, v34
	v_lshlrev_b64 v[36:37], 2, v[36:37]
	v_addc_co_u32_e32 v35, vcc, v9, v35, vcc
	v_add_co_u32_e32 v36, vcc, s40, v36
	v_addc_co_u32_e32 v37, vcc, v9, v37, vcc
	v_add_u32_e32 v2, -4, v2
	s_add_i32 s44, s44, 8
	v_add_u32_e32 v7, 0x800, v7
	v_add_u32_e32 v6, 0x800, v6
	s_waitcnt vmcnt(0) lgkmcnt(0)
	v_pk_fma_f32 v[30:31], v[4:5], v[32:33], v[30:31]
	global_store_dword v[26:27], v30, off
	global_store_dword v[28:29], v31, off
	global_load_dword v26, v[34:35], off
	s_nop 0
	global_load_dword v27, v[36:37], off
	ds_read2st64_b32 v[28:29], v8 offset0:8 offset1:12
	v_add_u32_e32 v30, 0x400, v22
	v_ashrrev_i32_e32 v31, 31, v30
	v_add_u32_e32 v32, 0x400, v24
	v_lshlrev_b64 v[30:31], 2, v[30:31]
	v_ashrrev_i32_e32 v33, 31, v32
	v_add_co_u32_e32 v30, vcc, s40, v30
	v_lshlrev_b64 v[32:33], 2, v[32:33]
	v_addc_co_u32_e32 v31, vcc, v9, v31, vcc
	v_add_co_u32_e32 v32, vcc, s40, v32
	v_addc_co_u32_e32 v33, vcc, v9, v33, vcc
	v_add_u32_e32 v22, 0x600, v22
	v_ashrrev_i32_e32 v23, 31, v22
	v_add_u32_e32 v24, 0x600, v24
	v_lshlrev_b64 v[22:23], 2, v[22:23]
	v_ashrrev_i32_e32 v25, 31, v24
	v_add_co_u32_e32 v22, vcc, s40, v22
	v_lshlrev_b64 v[24:25], 2, v[24:25]
	v_addc_co_u32_e32 v23, vcc, v9, v23, vcc
	v_add_co_u32_e32 v24, vcc, s40, v24
	v_addc_co_u32_e32 v25, vcc, v9, v25, vcc
	v_cmp_eq_u32_e32 vcc, 0, v2
	v_mov_b32_e32 v9, s44
	s_or_b64 s[38:39], vcc, s[38:39]
	s_waitcnt vmcnt(0) lgkmcnt(0)
	v_pk_fma_f32 v[26:27], v[4:5], v[28:29], v[26:27]
	global_store_dword v[34:35], v26, off
	global_store_dword v[36:37], v27, off
	global_load_dword v26, v[30:31], off
	s_nop 0
	global_load_dword v27, v[32:33], off
	ds_read2st64_b32 v[28:29], v8 offset0:16 offset1:20
	s_waitcnt vmcnt(0) lgkmcnt(0)
	v_pk_fma_f32 v[26:27], v[4:5], v[28:29], v[26:27]
	global_store_dword v[30:31], v26, off
	global_store_dword v[32:33], v27, off
	global_load_dword v26, v[22:23], off
	s_nop 0
	global_load_dword v27, v[24:25], off
	ds_read2st64_b32 v[28:29], v8 offset0:24 offset1:28
	v_add_u32_e32 v8, 0x2000, v8
	s_waitcnt vmcnt(0) lgkmcnt(0)
	v_pk_fma_f32 v[26:27], v[4:5], v[28:29], v[26:27]
	global_store_dword v[22:23], v26, off
	global_store_dword v[24:25], v27, off
	s_andn2_b64 exec, exec, s[38:39]
	s_cbranch_execnz .LBB2_44
; %bb.45:                               ;   in Loop: Header=BB2_20 Depth=1
	s_or_b64 exec, exec, s[38:39]
.LBB2_46:                               ;   in Loop: Header=BB2_20 Depth=1
	s_or_b64 exec, exec, s[36:37]
	s_and_saveexec_b64 s[36:37], s[14:15]
	s_cbranch_execz .LBB2_49
; %bb.47:                               ;   in Loop: Header=BB2_20 Depth=1
	v_lshl_or_b32 v2, v9, 10, v14
	s_mov_b64 s[38:39], 0
	v_mov_b32_e32 v8, v12
.LBB2_48:                               ;   Parent Loop BB2_20 Depth=1
                                        ; =>  This Inner Loop Header: Depth=2
	v_add_u32_e32 v22, s29, v6
	v_ashrrev_i32_e32 v23, 31, v22
	v_add_u32_e32 v24, s29, v7
	v_lshlrev_b64 v[22:23], 2, v[22:23]
	v_mov_b32_e32 v9, s41
	v_ashrrev_i32_e32 v25, 31, v24
	v_add_co_u32_e32 v22, vcc, s40, v22
	v_lshlrev_b64 v[24:25], 2, v[24:25]
	v_addc_co_u32_e32 v23, vcc, v9, v23, vcc
	v_add_co_u32_e32 v24, vcc, s40, v24
	v_addc_co_u32_e32 v25, vcc, v9, v25, vcc
	global_load_dword v26, v[22:23], off
	global_load_dword v27, v[24:25], off
	ds_read2st64_b32 v[28:29], v2 offset1:4
	v_add_u32_e32 v8, -1, v8
	v_cmp_eq_u32_e32 vcc, 0, v8
	v_add_u32_e32 v7, 0x200, v7
	v_add_u32_e32 v6, 0x200, v6
	v_add_u32_e32 v2, 0x800, v2
	s_or_b64 s[38:39], vcc, s[38:39]
	s_waitcnt vmcnt(0) lgkmcnt(0)
	v_pk_fma_f32 v[26:27], v[4:5], v[28:29], v[26:27]
	global_store_dword v[22:23], v26, off
	global_store_dword v[24:25], v27, off
	s_andn2_b64 exec, exec, s[38:39]
	s_cbranch_execnz .LBB2_48
.LBB2_49:                               ;   in Loop: Header=BB2_20 Depth=1
	s_or_b64 exec, exec, s[36:37]
	s_mov_b64 s[36:37], 0
                                        ; implicit-def: $vgpr2
	s_and_saveexec_b64 s[38:39], s[16:17]
	s_xor_b64 s[38:39], exec, s[38:39]
; %bb.50:                               ;   in Loop: Header=BB2_20 Depth=1
	s_mov_b64 s[36:37], exec
	v_lshlrev_b32_e32 v2, 2, v11
; %bb.51:                               ;   in Loop: Header=BB2_20 Depth=1
	s_or_b64 exec, exec, s[38:39]
	s_orn2_b64 s[36:37], s[36:37], exec
	v_mov_b32_e32 v6, v11
.LBB2_52:                               ;   in Loop: Header=BB2_20 Depth=1
	s_or_b64 exec, exec, s[34:35]
	s_and_b64 exec, exec, s[36:37]
	s_cbranch_execz .LBB2_19
; %bb.53:                               ;   in Loop: Header=BB2_20 Depth=1
	v_ashrrev_i32_e32 v7, 31, v6
	s_add_u32 s29, s40, s30
	v_lshlrev_b64 v[8:9], 2, v[6:7]
	s_addc_u32 s30, s41, s31
	v_mov_b32_e32 v5, s30
	v_add_co_u32_e32 v8, vcc, s29, v8
	v_addc_co_u32_e32 v9, vcc, v5, v9, vcc
	s_mov_b64 s[30:31], 0
.LBB2_54:                               ;   Parent Loop BB2_20 Depth=1
                                        ; =>  This Inner Loop Header: Depth=2
	global_load_dword v5, v[8:9], off
	ds_read_b32 v7, v2
	v_add_u32_e32 v6, 0x100, v6
	v_cmp_le_i32_e32 vcc, s22, v6
	s_or_b64 s[30:31], vcc, s[30:31]
	v_add_u32_e32 v2, 0x400, v2
	s_waitcnt vmcnt(0) lgkmcnt(0)
	v_fmac_f32_e32 v5, v4, v7
	global_store_dword v[8:9], v5, off
	v_add_co_u32_e32 v8, vcc, 0x400, v8
	v_addc_co_u32_e32 v9, vcc, 0, v9, vcc
	s_andn2_b64 exec, exec, s[30:31]
	s_cbranch_execnz .LBB2_54
	s_branch .LBB2_19
.LBB2_55:
	s_endpgm
	.section	.rodata,"a",@progbits
	.p2align	6, 0x0
	.amdhsa_kernel _ZN9rocsolver6v33100L22larf_left_kernel_smallILi256EfiPfEEvT1_S3_T2_lS3_lPKT0_lS4_lS3_l
		.amdhsa_group_segment_fixed_size 9216
		.amdhsa_private_segment_fixed_size 0
		.amdhsa_kernarg_size 88
		.amdhsa_user_sgpr_count 6
		.amdhsa_user_sgpr_private_segment_buffer 1
		.amdhsa_user_sgpr_dispatch_ptr 0
		.amdhsa_user_sgpr_queue_ptr 0
		.amdhsa_user_sgpr_kernarg_segment_ptr 1
		.amdhsa_user_sgpr_dispatch_id 0
		.amdhsa_user_sgpr_flat_scratch_init 0
		.amdhsa_user_sgpr_kernarg_preload_length 0
		.amdhsa_user_sgpr_kernarg_preload_offset 0
		.amdhsa_user_sgpr_private_segment_size 0
		.amdhsa_uses_dynamic_stack 0
		.amdhsa_system_sgpr_private_segment_wavefront_offset 0
		.amdhsa_system_sgpr_workgroup_id_x 1
		.amdhsa_system_sgpr_workgroup_id_y 1
		.amdhsa_system_sgpr_workgroup_id_z 0
		.amdhsa_system_sgpr_workgroup_info 0
		.amdhsa_system_vgpr_workitem_id 0
		.amdhsa_next_free_vgpr 38
		.amdhsa_next_free_sgpr 45
		.amdhsa_accum_offset 40
		.amdhsa_reserve_vcc 1
		.amdhsa_reserve_flat_scratch 0
		.amdhsa_float_round_mode_32 0
		.amdhsa_float_round_mode_16_64 0
		.amdhsa_float_denorm_mode_32 3
		.amdhsa_float_denorm_mode_16_64 3
		.amdhsa_dx10_clamp 1
		.amdhsa_ieee_mode 1
		.amdhsa_fp16_overflow 0
		.amdhsa_tg_split 0
		.amdhsa_exception_fp_ieee_invalid_op 0
		.amdhsa_exception_fp_denorm_src 0
		.amdhsa_exception_fp_ieee_div_zero 0
		.amdhsa_exception_fp_ieee_overflow 0
		.amdhsa_exception_fp_ieee_underflow 0
		.amdhsa_exception_fp_ieee_inexact 0
		.amdhsa_exception_int_div_zero 0
	.end_amdhsa_kernel
	.section	.text._ZN9rocsolver6v33100L22larf_left_kernel_smallILi256EfiPfEEvT1_S3_T2_lS3_lPKT0_lS4_lS3_l,"axG",@progbits,_ZN9rocsolver6v33100L22larf_left_kernel_smallILi256EfiPfEEvT1_S3_T2_lS3_lPKT0_lS4_lS3_l,comdat
.Lfunc_end2:
	.size	_ZN9rocsolver6v33100L22larf_left_kernel_smallILi256EfiPfEEvT1_S3_T2_lS3_lPKT0_lS4_lS3_l, .Lfunc_end2-_ZN9rocsolver6v33100L22larf_left_kernel_smallILi256EfiPfEEvT1_S3_T2_lS3_lPKT0_lS4_lS3_l
                                        ; -- End function
	.section	.AMDGPU.csdata,"",@progbits
; Kernel info:
; codeLenInByte = 3416
; NumSgprs: 49
; NumVgprs: 38
; NumAgprs: 0
; TotalNumVgprs: 38
; ScratchSize: 0
; MemoryBound: 0
; FloatMode: 240
; IeeeMode: 1
; LDSByteSize: 9216 bytes/workgroup (compile time only)
; SGPRBlocks: 6
; VGPRBlocks: 4
; NumSGPRsForWavesPerEU: 49
; NumVGPRsForWavesPerEU: 38
; AccumOffset: 40
; Occupancy: 7
; WaveLimiterHint : 1
; COMPUTE_PGM_RSRC2:SCRATCH_EN: 0
; COMPUTE_PGM_RSRC2:USER_SGPR: 6
; COMPUTE_PGM_RSRC2:TRAP_HANDLER: 0
; COMPUTE_PGM_RSRC2:TGID_X_EN: 1
; COMPUTE_PGM_RSRC2:TGID_Y_EN: 1
; COMPUTE_PGM_RSRC2:TGID_Z_EN: 0
; COMPUTE_PGM_RSRC2:TIDIG_COMP_CNT: 0
; COMPUTE_PGM_RSRC3_GFX90A:ACCUM_OFFSET: 9
; COMPUTE_PGM_RSRC3_GFX90A:TG_SPLIT: 0
	.section	.text._ZN9rocsolver6v33100L22larf_left_kernel_smallILi512EfiPfEEvT1_S3_T2_lS3_lPKT0_lS4_lS3_l,"axG",@progbits,_ZN9rocsolver6v33100L22larf_left_kernel_smallILi512EfiPfEEvT1_S3_T2_lS3_lPKT0_lS4_lS3_l,comdat
	.globl	_ZN9rocsolver6v33100L22larf_left_kernel_smallILi512EfiPfEEvT1_S3_T2_lS3_lPKT0_lS4_lS3_l ; -- Begin function _ZN9rocsolver6v33100L22larf_left_kernel_smallILi512EfiPfEEvT1_S3_T2_lS3_lPKT0_lS4_lS3_l
	.p2align	8
	.type	_ZN9rocsolver6v33100L22larf_left_kernel_smallILi512EfiPfEEvT1_S3_T2_lS3_lPKT0_lS4_lS3_l,@function
_ZN9rocsolver6v33100L22larf_left_kernel_smallILi512EfiPfEEvT1_S3_T2_lS3_lPKT0_lS4_lS3_l: ; @_ZN9rocsolver6v33100L22larf_left_kernel_smallILi512EfiPfEEvT1_S3_T2_lS3_lPKT0_lS4_lS3_l
; %bb.0:
	s_load_dwordx2 s[20:21], s[4:5], 0x0
	s_load_dwordx8 s[8:15], s[4:5], 0x20
	s_load_dwordx2 s[16:17], s[4:5], 0x40
	s_ashr_i32 s26, s6, 31
	s_waitcnt lgkmcnt(0)
	v_cmp_gt_i32_e64 s[0:1], s20, v0
	v_xad_u32 v4, v0, -1, s20
	s_and_saveexec_b64 s[18:19], s[0:1]
	s_cbranch_execz .LBB3_17
; %bb.1:
	s_load_dwordx4 s[36:39], s[4:5], 0x8
	s_load_dword s28, s[4:5], 0x18
	s_mul_i32 s2, s6, s9
	s_mul_hi_u32 s3, s6, s8
	s_add_i32 s2, s3, s2
	s_mul_i32 s3, s26, s8
	s_add_i32 s3, s2, s3
	s_mul_i32 s2, s6, s8
	s_lshl_b64 s[2:3], s[2:3], 2
	s_waitcnt lgkmcnt(0)
	s_add_u32 s8, s36, s2
	s_addc_u32 s9, s37, s3
	s_lshl_b64 s[2:3], s[38:39], 2
	s_add_u32 s27, s8, s2
	s_addc_u32 s29, s9, s3
	s_sub_i32 s2, 1, s20
	s_mul_i32 s2, s2, s28
	s_cmp_lt_i32 s28, 1
	s_cselect_b32 s30, s2, 0
	s_movk_i32 s2, 0x2dff
	v_cmp_lt_u32_e32 vcc, s2, v4
	s_mov_b64 s[2:3], 0
                                        ; implicit-def: $vgpr1
                                        ; implicit-def: $sgpr31
	s_and_saveexec_b64 s[8:9], vcc
	s_xor_b64 s[22:23], exec, s[8:9]
	s_cbranch_execnz .LBB3_4
; %bb.2:
	s_or_saveexec_b64 s[8:9], s[22:23]
	v_mov_b32_e32 v5, s31
	s_xor_b64 exec, exec, s[8:9]
	s_cbranch_execnz .LBB3_14
.LBB3_3:
	s_or_b64 exec, exec, s[8:9]
	s_and_b64 exec, exec, s[2:3]
	s_cbranch_execnz .LBB3_15
	s_branch .LBB3_17
.LBB3_4:
	s_lshl_b32 s31, s28, 9
	s_sub_i32 s8, 0, s31
	s_cmp_lt_i32 s31, 0
	s_cselect_b64 vcc, -1, 0
	s_and_b64 s[2:3], vcc, exec
	v_lshrrev_b32_e32 v5, 9, v4
	s_cselect_b32 s8, s8, s31
	v_mul_lo_u32 v1, v0, s28
	v_mul_hi_u32 v2, s8, v5
	v_add_u32_e32 v1, s30, v1
	v_cmp_eq_u32_e64 s[2:3], 0, v2
	v_mul_lo_u32 v2, s8, v5
	v_add_u32_e32 v3, v1, v2
	v_sub_u32_e32 v2, v1, v2
	v_cmp_gt_i32_e64 s[8:9], v2, v1
	v_cndmask_b32_e64 v2, 0, 1, s[8:9]
	v_cmp_lt_i32_e64 s[8:9], v3, v1
	v_cndmask_b32_e64 v1, 0, 1, s[8:9]
	v_cndmask_b32_e32 v1, v1, v2, vcc
	v_and_b32_e32 v1, 1, v1
	v_cmp_eq_u32_e32 vcc, 1, v1
	s_xor_b64 s[24:25], vcc, -1
	s_mov_b64 s[8:9], -1
	s_and_b64 s[24:25], s[24:25], s[2:3]
	v_mov_b32_e32 v1, v0
	s_and_saveexec_b64 s[2:3], s[24:25]
	s_cbranch_execz .LBB3_13
; %bb.5:
	v_add_u32_e32 v2, -1, v5
	v_or_b32_e32 v1, 0x200, v0
	v_lshrrev_b32_e32 v3, 1, v2
	v_add_u32_e32 v6, 1, v3
	v_cmp_lt_u32_e32 vcc, 5, v2
	v_mov_b32_e32 v10, 0
	v_pk_mov_b32 v[2:3], v[0:1], v[0:1] op_sel:[0,1]
	s_and_saveexec_b64 s[8:9], vcc
	s_cbranch_execz .LBB3_9
; %bb.6:
	v_and_b32_e32 v7, -4, v6
	v_lshlrev_b32_e32 v8, 2, v0
	s_mov_b32 s33, 0
	s_mov_b64 s[24:25], 0
	v_mov_b32_e32 v9, s29
	v_pk_mov_b32 v[2:3], v[0:1], v[0:1] op_sel:[0,1]
.LBB3_7:                                ; =>This Inner Loop Header: Depth=1
	v_mul_lo_u32 v10, v2, s28
	v_add_u32_e32 v11, 0x400, v2
	v_add_u32_e32 v10, s30, v10
	v_mul_lo_u32 v1, v3, s28
	v_mul_lo_u32 v18, v11, s28
	v_ashrrev_i32_e32 v11, 31, v10
	v_add_u32_e32 v13, 0x400, v3
	v_add_u32_e32 v12, s30, v1
	v_lshlrev_b64 v[10:11], 2, v[10:11]
	v_add_u32_e32 v14, 0x800, v2
	v_add_u32_e32 v15, 0x800, v3
	v_mul_lo_u32 v1, v13, s28
	v_ashrrev_i32_e32 v13, 31, v12
	v_add_co_u32_e32 v10, vcc, s27, v10
	v_mul_lo_u32 v15, v15, s28
	v_mul_lo_u32 v19, v14, s28
	v_add_u32_e32 v14, s30, v18
	v_lshlrev_b64 v[12:13], 2, v[12:13]
	v_addc_co_u32_e32 v11, vcc, v9, v11, vcc
	v_add_u32_e32 v16, 0xc00, v2
	v_add_u32_e32 v17, 0xc00, v3
	;; [unrolled: 1-line block ×3, first 2 shown]
	v_ashrrev_i32_e32 v15, 31, v14
	v_add_co_u32_e32 v12, vcc, s27, v12
	v_mul_lo_u32 v17, v17, s28
	v_mul_lo_u32 v21, v16, s28
	v_add_u32_e32 v16, s30, v1
	v_addc_co_u32_e32 v13, vcc, v9, v13, vcc
	v_lshlrev_b64 v[14:15], 2, v[14:15]
	v_add_u32_e32 v24, s30, v17
	v_ashrrev_i32_e32 v17, 31, v16
	v_add_co_u32_e32 v14, vcc, s27, v14
	v_add_u32_e32 v18, s30, v19
	v_lshlrev_b64 v[16:17], 2, v[16:17]
	v_addc_co_u32_e32 v15, vcc, v9, v15, vcc
	v_ashrrev_i32_e32 v19, 31, v18
	v_add_co_u32_e32 v16, vcc, s27, v16
	v_lshlrev_b64 v[18:19], 2, v[18:19]
	v_addc_co_u32_e32 v17, vcc, v9, v17, vcc
	v_add_u32_e32 v22, s30, v21
	v_ashrrev_i32_e32 v21, 31, v20
	v_add_co_u32_e32 v18, vcc, s27, v18
	v_lshlrev_b64 v[20:21], 2, v[20:21]
	v_addc_co_u32_e32 v19, vcc, v9, v19, vcc
	v_ashrrev_i32_e32 v23, 31, v22
	v_add_co_u32_e32 v20, vcc, s27, v20
	v_lshlrev_b64 v[22:23], 2, v[22:23]
	v_addc_co_u32_e32 v21, vcc, v9, v21, vcc
	;; [unrolled: 4-line block ×3, first 2 shown]
	v_add_co_u32_e32 v24, vcc, s27, v24
	v_addc_co_u32_e32 v25, vcc, v9, v25, vcc
	global_load_dword v1, v[10:11], off
	global_load_dword v26, v[12:13], off
	;; [unrolled: 1-line block ×8, first 2 shown]
	v_add_u32_e32 v7, -4, v7
	s_add_i32 s33, s33, 8
	v_cmp_eq_u32_e32 vcc, 0, v7
	v_add_u32_e32 v3, 0x1000, v3
	v_add_u32_e32 v2, 0x1000, v2
	v_mov_b32_e32 v10, s33
	s_or_b64 s[24:25], vcc, s[24:25]
	s_waitcnt vmcnt(6)
	ds_write2st64_b32 v8, v1, v26 offset1:8
	s_waitcnt vmcnt(4)
	ds_write2st64_b32 v8, v27, v28 offset0:16 offset1:24
	s_waitcnt vmcnt(2)
	ds_write2st64_b32 v8, v29, v30 offset0:32 offset1:40
	;; [unrolled: 2-line block ×3, first 2 shown]
	v_add_u32_e32 v8, 0x4000, v8
	s_andn2_b64 exec, exec, s[24:25]
	s_cbranch_execnz .LBB3_7
; %bb.8:
	s_or_b64 exec, exec, s[24:25]
.LBB3_9:
	s_or_b64 exec, exec, s[8:9]
	v_and_b32_e32 v1, 3, v6
	v_cmp_ne_u32_e32 vcc, 0, v1
	s_and_saveexec_b64 s[8:9], vcc
	s_cbranch_execz .LBB3_12
; %bb.10:
	v_lshlrev_b32_e32 v6, 2, v0
	v_lshl_or_b32 v6, v10, 11, v6
	s_mov_b64 s[24:25], 0
	v_mov_b32_e32 v7, s29
.LBB3_11:                               ; =>This Inner Loop Header: Depth=1
	v_mul_lo_u32 v8, v2, s28
	v_mul_lo_u32 v9, v3, s28
	v_add_u32_e32 v8, s30, v8
	v_add_u32_e32 v10, s30, v9
	v_ashrrev_i32_e32 v9, 31, v8
	v_lshlrev_b64 v[8:9], 2, v[8:9]
	v_ashrrev_i32_e32 v11, 31, v10
	v_add_co_u32_e32 v8, vcc, s27, v8
	v_lshlrev_b64 v[10:11], 2, v[10:11]
	v_addc_co_u32_e32 v9, vcc, v7, v9, vcc
	v_add_co_u32_e32 v10, vcc, s27, v10
	v_addc_co_u32_e32 v11, vcc, v7, v11, vcc
	global_load_dword v12, v[8:9], off
	global_load_dword v13, v[10:11], off
	v_add_u32_e32 v1, -1, v1
	v_cmp_eq_u32_e32 vcc, 0, v1
	v_add_u32_e32 v3, 0x400, v3
	v_add_u32_e32 v2, 0x400, v2
	s_or_b64 s[24:25], vcc, s[24:25]
	s_waitcnt vmcnt(0)
	ds_write2st64_b32 v6, v12, v13 offset1:8
	v_add_u32_e32 v6, 0x1000, v6
	s_andn2_b64 exec, exec, s[24:25]
	s_cbranch_execnz .LBB3_11
.LBB3_12:
	s_or_b64 exec, exec, s[8:9]
	v_add_u32_e32 v2, 1, v5
	v_and_b32_e32 v3, 0xfffffe, v2
	v_cmp_ne_u32_e32 vcc, v2, v3
	v_lshl_or_b32 v1, v3, 9, v0
	s_orn2_b64 s[8:9], vcc, exec
.LBB3_13:
	s_or_b64 exec, exec, s[2:3]
	s_and_b64 s[2:3], s[8:9], exec
	s_or_saveexec_b64 s[8:9], s[22:23]
	v_mov_b32_e32 v5, s31
	s_xor_b64 exec, exec, s[8:9]
	s_cbranch_execz .LBB3_3
.LBB3_14:
	s_lshl_b32 s22, s28, 9
	v_mov_b32_e32 v5, s22
	s_or_b64 s[2:3], s[2:3], exec
	v_mov_b32_e32 v1, v0
	s_or_b64 exec, exec, s[8:9]
	s_and_b64 exec, exec, s[2:3]
	s_cbranch_execz .LBB3_17
.LBB3_15:
	v_mul_lo_u32 v2, v1, s28
	v_add_u32_e32 v2, s30, v2
	v_lshlrev_b32_e32 v6, 2, v1
	s_mov_b64 s[2:3], 0
	v_mov_b32_e32 v7, s29
.LBB3_16:                               ; =>This Inner Loop Header: Depth=1
	v_ashrrev_i32_e32 v3, 31, v2
	v_lshlrev_b64 v[8:9], 2, v[2:3]
	v_add_co_u32_e32 v8, vcc, s27, v8
	v_addc_co_u32_e32 v9, vcc, v7, v9, vcc
	global_load_dword v3, v[8:9], off
	v_add_u32_e32 v1, 0x200, v1
	v_cmp_le_i32_e32 vcc, s20, v1
	v_add_u32_e32 v2, v2, v5
	s_or_b64 s[2:3], vcc, s[2:3]
	s_waitcnt vmcnt(0)
	ds_write_b32 v6, v3
	v_add_u32_e32 v6, 0x800, v6
	s_andn2_b64 exec, exec, s[2:3]
	s_cbranch_execnz .LBB3_16
.LBB3_17:
	s_or_b64 exec, exec, s[18:19]
	s_cmp_ge_i32 s7, s21
	s_waitcnt lgkmcnt(0)
	s_barrier
	s_cbranch_scc1 .LBB3_55
; %bb.18:
	s_load_dwordx2 s[2:3], s[4:5], 0x50
	s_load_dword s33, s[4:5], 0x48
	v_and_b32_e32 v1, 63, v0
	v_lshlrev_b32_e32 v14, 2, v0
	v_lshrrev_b32_e32 v10, 4, v0
	s_waitcnt lgkmcnt(0)
	s_mul_i32 s3, s6, s3
	s_mul_hi_u32 s4, s6, s2
	s_mul_i32 s5, s26, s2
	s_add_i32 s3, s4, s3
	s_mul_i32 s2, s6, s2
	s_add_i32 s3, s3, s5
	s_lshl_b64 s[2:3], s[2:3], 2
	s_lshl_b64 s[4:5], s[16:17], 2
	s_add_u32 s2, s2, s4
	s_addc_u32 s3, s3, s5
	s_add_u32 s40, s14, s2
	s_addc_u32 s41, s15, s3
	s_mul_i32 s2, s6, s13
	s_mul_hi_u32 s3, s6, s12
	s_add_i32 s2, s3, s2
	s_mul_i32 s3, s26, s12
	s_add_i32 s3, s2, s3
	s_mul_i32 s2, s6, s12
	s_lshl_b64 s[2:3], s[2:3], 2
	s_add_u32 s22, s10, s2
	s_addc_u32 s23, s11, s3
	v_cmp_eq_u32_e64 s[2:3], 0, v1
	v_lshrrev_b32_e32 v1, 9, v4
	s_movk_i32 s6, 0xdff
	v_add_u32_e32 v2, 1, v1
	v_add_u32_e32 v3, -1, v1
	v_cmp_lt_u32_e64 s[8:9], s6, v4
	s_movk_i32 s6, 0x1ff
	s_cmp_gt_i32 s20, 1
	v_lshrrev_b32_e32 v1, 1, v3
	v_cmp_lt_u32_e64 s[10:11], s6, v4
	v_and_b32_e32 v4, 0xfffffe, v2
	s_cselect_b64 s[24:25], -1, 0
	v_add_u32_e32 v5, 1, v1
	v_and_b32_e32 v6, 7, v2
	v_cmp_ne_u32_e64 s[16:17], v2, v4
	v_mov_b32_e32 v2, s41
	v_add_co_u32_e32 v15, vcc, s40, v14
	s_lshl_b32 s6, s33, 6
	v_and_b32_e32 v12, 3, v5
	v_addc_co_u32_e32 v16, vcc, 0, v2, vcc
	s_add_u32 s42, s40, 0x3800
	v_mbcnt_lo_u32_b32 v2, -1, 0
	v_cmp_eq_u32_e64 s[4:5], 0, v0
	v_cmp_ne_u32_e64 s[18:19], 0, v6
	v_lshl_or_b32 v11, v4, 9, v0
	v_or_b32_e32 v1, 0x200, v0
	v_cmp_lt_u32_e64 s[12:13], 5, v3
	v_and_b32_e32 v13, -4, v5
	v_cmp_ne_u32_e64 s[14:15], 0, v12
	v_mov_b32_e32 v3, 0
	s_mul_i32 s26, s7, s33
	v_lshlrev_b32_e32 v17, 2, v6
	s_addc_u32 s43, s41, 0
	v_mov_b32_e32 v18, 0x2004
	v_mov_b32_e32 v19, 0x200c
	;; [unrolled: 1-line block ×3, first 2 shown]
	v_mbcnt_hi_u32_b32 v21, -1, v2
	s_branch .LBB3_20
.LBB3_19:                               ;   in Loop: Header=BB3_20 Depth=1
	s_or_b64 exec, exec, s[30:31]
	s_add_i32 s7, s7, 64
	s_add_i32 s26, s26, s6
	s_cmp_ge_i32 s7, s21
	s_cbranch_scc1 .LBB3_55
.LBB3_20:                               ; =>This Loop Header: Depth=1
                                        ;     Child Loop BB3_23 Depth 2
                                        ;     Child Loop BB3_27 Depth 2
	;; [unrolled: 1-line block ×5, first 2 shown]
	s_ashr_i32 s27, s26, 31
	s_lshl_b64 s[28:29], s[26:27], 2
	v_mov_b32_e32 v6, 0
	s_and_saveexec_b64 s[30:31], s[0:1]
	s_cbranch_execz .LBB3_30
; %bb.21:                               ;   in Loop: Header=BB3_20 Depth=1
	v_mov_b32_e32 v6, 0
	v_mov_b32_e32 v2, v0
	s_and_saveexec_b64 s[34:35], s[18:19]
	s_cbranch_execz .LBB3_25
; %bb.22:                               ;   in Loop: Header=BB3_20 Depth=1
	v_mov_b32_e32 v2, s29
	v_add_co_u32_e32 v4, vcc, s28, v15
	v_addc_co_u32_e32 v5, vcc, v16, v2, vcc
	s_mov_b64 s[36:37], 0
	v_mov_b32_e32 v6, 0
	v_mov_b32_e32 v7, v17
	;; [unrolled: 1-line block ×4, first 2 shown]
.LBB3_23:                               ;   Parent Loop BB3_20 Depth=1
                                        ; =>  This Inner Loop Header: Depth=2
	global_load_dword v9, v[4:5], off
	ds_read_b32 v22, v8
	v_add_co_u32_e32 v4, vcc, 0x800, v4
	v_add_u32_e32 v7, -4, v7
	v_addc_co_u32_e32 v5, vcc, 0, v5, vcc
	v_cmp_eq_u32_e32 vcc, 0, v7
	v_add_u32_e32 v2, 0x200, v2
	v_add_u32_e32 v8, 0x800, v8
	s_or_b64 s[36:37], vcc, s[36:37]
	s_waitcnt vmcnt(0) lgkmcnt(0)
	v_mul_f32_e32 v9, v22, v9
	v_add_f32_e32 v6, v6, v9
	s_andn2_b64 exec, exec, s[36:37]
	s_cbranch_execnz .LBB3_23
; %bb.24:                               ;   in Loop: Header=BB3_20 Depth=1
	s_or_b64 exec, exec, s[36:37]
.LBB3_25:                               ;   in Loop: Header=BB3_20 Depth=1
	s_or_b64 exec, exec, s[34:35]
	s_and_saveexec_b64 s[34:35], s[8:9]
	s_cbranch_execz .LBB3_29
; %bb.26:                               ;   in Loop: Header=BB3_20 Depth=1
	s_add_u32 s27, s42, s28
	v_lshlrev_b64 v[4:5], 2, v[2:3]
	s_addc_u32 s36, s43, s29
	v_mov_b32_e32 v7, s36
	v_add_co_u32_e32 v4, vcc, s27, v4
	v_addc_co_u32_e32 v5, vcc, v7, v5, vcc
	v_lshlrev_b32_e32 v7, 2, v2
	s_mov_b64 s[36:37], 0
.LBB3_27:                               ;   Parent Loop BB3_20 Depth=1
                                        ; =>  This Inner Loop Header: Depth=2
	v_add_co_u32_e32 v8, vcc, 0xffffd000, v4
	v_addc_co_u32_e32 v9, vcc, -1, v5, vcc
	v_add_co_u32_e32 v22, vcc, 0xffffe000, v4
	v_addc_co_u32_e32 v23, vcc, -1, v5, vcc
	global_load_dword v28, v[8:9], off offset:-2048
	global_load_dword v29, v[8:9], off
	global_load_dword v30, v[22:23], off offset:-2048
	global_load_dword v31, v[22:23], off
	v_add_co_u32_e32 v24, vcc, 0xfffff000, v4
	v_addc_co_u32_e32 v25, vcc, -1, v5, vcc
	global_load_dword v32, v[24:25], off offset:-2048
	global_load_dword v33, v[4:5], off offset:-4096
	;; [unrolled: 1-line block ×3, first 2 shown]
	global_load_dword v35, v[4:5], off
	ds_read2st64_b32 v[8:9], v7 offset1:8
	ds_read2st64_b32 v[22:23], v7 offset0:16 offset1:24
	ds_read2st64_b32 v[24:25], v7 offset0:32 offset1:40
	;; [unrolled: 1-line block ×3, first 2 shown]
	v_add_u32_e32 v2, 0x1000, v2
	v_cmp_le_i32_e32 vcc, s20, v2
	s_or_b64 s[36:37], vcc, s[36:37]
	v_add_co_u32_e32 v4, vcc, 0x4000, v4
	v_add_u32_e32 v7, 0x4000, v7
	v_addc_co_u32_e32 v5, vcc, 0, v5, vcc
	s_waitcnt vmcnt(7) lgkmcnt(3)
	v_mul_f32_e32 v8, v8, v28
	s_waitcnt vmcnt(6)
	v_mul_f32_e32 v9, v9, v29
	v_add_f32_e32 v6, v6, v8
	s_waitcnt vmcnt(5) lgkmcnt(2)
	v_mul_f32_e32 v8, v22, v30
	v_add_f32_e32 v6, v6, v9
	s_waitcnt vmcnt(4)
	v_mul_f32_e32 v22, v23, v31
	v_add_f32_e32 v6, v6, v8
	s_waitcnt vmcnt(3) lgkmcnt(1)
	v_mul_f32_e32 v9, v24, v32
	v_add_f32_e32 v6, v6, v22
	;; [unrolled: 6-line block ×3, first 2 shown]
	s_waitcnt vmcnt(0)
	v_mul_f32_e32 v25, v27, v35
	v_add_f32_e32 v6, v6, v24
	v_add_f32_e32 v6, v6, v25
	s_andn2_b64 exec, exec, s[36:37]
	s_cbranch_execnz .LBB3_27
; %bb.28:                               ;   in Loop: Header=BB3_20 Depth=1
	s_or_b64 exec, exec, s[36:37]
.LBB3_29:                               ;   in Loop: Header=BB3_20 Depth=1
	s_or_b64 exec, exec, s[34:35]
.LBB3_30:                               ;   in Loop: Header=BB3_20 Depth=1
	s_or_b64 exec, exec, s[30:31]
	s_and_b64 vcc, exec, s[24:25]
	s_cbranch_vccz .LBB3_37
; %bb.31:                               ;   in Loop: Header=BB3_20 Depth=1
	v_and_b32_e32 v2, 63, v21
	v_cmp_ne_u32_e32 vcc, 63, v2
	v_addc_co_u32_e32 v4, vcc, 0, v21, vcc
	v_lshlrev_b32_e32 v4, 2, v4
	ds_bpermute_b32 v4, v4, v6
	v_cmp_gt_u32_e32 vcc, 62, v2
	v_cndmask_b32_e64 v5, 0, 1, vcc
	v_lshlrev_b32_e32 v5, 1, v5
	v_add_lshl_u32 v5, v5, v21, 2
	s_waitcnt lgkmcnt(0)
	v_add_f32_e32 v4, v6, v4
	ds_bpermute_b32 v5, v5, v4
	v_cmp_gt_u32_e32 vcc, 60, v2
	v_cndmask_b32_e64 v7, 0, 1, vcc
	v_cmp_gt_u32_e32 vcc, 56, v2
	s_waitcnt lgkmcnt(0)
	v_add_f32_e32 v4, v4, v5
	v_lshlrev_b32_e32 v5, 2, v7
	v_add_lshl_u32 v5, v5, v21, 2
	ds_bpermute_b32 v5, v5, v4
	v_cndmask_b32_e64 v7, 0, 1, vcc
	v_cmp_gt_u32_e32 vcc, 48, v2
	s_waitcnt lgkmcnt(0)
	v_add_f32_e32 v4, v4, v5
	v_lshlrev_b32_e32 v5, 3, v7
	v_add_lshl_u32 v5, v5, v21, 2
	ds_bpermute_b32 v5, v5, v4
	v_cndmask_b32_e64 v7, 0, 1, vcc
	v_cmp_gt_u32_e32 vcc, 32, v2
	v_cndmask_b32_e64 v2, 0, 1, vcc
	v_lshlrev_b32_e32 v2, 5, v2
	s_waitcnt lgkmcnt(0)
	v_add_f32_e32 v4, v4, v5
	v_lshlrev_b32_e32 v5, 4, v7
	v_add_lshl_u32 v5, v5, v21, 2
	ds_bpermute_b32 v5, v5, v4
	v_add_lshl_u32 v2, v2, v21, 2
	s_waitcnt lgkmcnt(0)
	v_add_f32_e32 v4, v4, v5
	ds_bpermute_b32 v2, v2, v4
	s_waitcnt lgkmcnt(0)
	v_add_f32_e32 v2, v4, v2
	s_and_saveexec_b64 s[30:31], s[2:3]
	s_cbranch_execz .LBB3_33
; %bb.32:                               ;   in Loop: Header=BB3_20 Depth=1
	ds_write_b32 v10, v2 offset:8192
.LBB3_33:                               ;   in Loop: Header=BB3_20 Depth=1
	s_or_b64 exec, exec, s[30:31]
	s_mov_b64 s[34:35], 0
	s_mov_b64 s[30:31], 0
	s_waitcnt lgkmcnt(0)
	s_barrier
	s_waitcnt lgkmcnt(0)
                                        ; implicit-def: $vgpr4
	s_and_saveexec_b64 s[36:37], s[4:5]
	s_xor_b64 s[36:37], exec, s[36:37]
	s_cbranch_execz .LBB3_35
; %bb.34:                               ;   in Loop: Header=BB3_20 Depth=1
	ds_read2_b32 v[4:5], v18 offset1:1
	ds_read2_b32 v[8:9], v19 offset1:1
	;; [unrolled: 1-line block ×3, first 2 shown]
	ds_read_b32 v7, v3 offset:8220
	s_mov_b64 s[30:31], exec
	s_waitcnt lgkmcnt(3)
	v_add_f32_e32 v2, v2, v4
	v_add_f32_e32 v2, v2, v5
	s_waitcnt lgkmcnt(2)
	v_add_f32_e32 v2, v2, v8
	v_add_f32_e32 v2, v2, v9
	;; [unrolled: 3-line block ×3, first 2 shown]
	s_waitcnt lgkmcnt(0)
	v_add_f32_e32 v4, v2, v7
.LBB3_35:                               ;   in Loop: Header=BB3_20 Depth=1
	s_or_b64 exec, exec, s[36:37]
	s_and_b64 vcc, exec, s[34:35]
	s_cbranch_vccnz .LBB3_38
.LBB3_36:                               ;   in Loop: Header=BB3_20 Depth=1
	v_mov_b32_e32 v6, v4
	s_and_saveexec_b64 s[34:35], s[30:31]
	s_cbranch_execnz .LBB3_39
	s_branch .LBB3_40
.LBB3_37:                               ;   in Loop: Header=BB3_20 Depth=1
	s_mov_b64 s[30:31], 0
                                        ; implicit-def: $vgpr4
	s_cbranch_execz .LBB3_36
.LBB3_38:                               ;   in Loop: Header=BB3_20 Depth=1
	s_andn2_b64 s[30:31], s[30:31], exec
	s_and_b64 s[34:35], s[4:5], exec
	s_or_b64 s[30:31], s[30:31], s[34:35]
	s_and_saveexec_b64 s[34:35], s[30:31]
	s_cbranch_execz .LBB3_40
.LBB3_39:                               ;   in Loop: Header=BB3_20 Depth=1
	ds_write_b32 v3, v6 offset:8192
.LBB3_40:                               ;   in Loop: Header=BB3_20 Depth=1
	s_or_b64 exec, exec, s[34:35]
	s_waitcnt lgkmcnt(0)
	s_barrier
	s_and_saveexec_b64 s[30:31], s[0:1]
	s_cbranch_execz .LBB3_19
; %bb.41:                               ;   in Loop: Header=BB3_20 Depth=1
	global_load_dword v2, v3, s[22:23]
	ds_read_b32 v4, v3 offset:8192
	s_mov_b64 s[36:37], -1
	v_mov_b32_e32 v6, v0
	s_waitcnt vmcnt(0) lgkmcnt(0)
	v_mul_f32_e64 v4, v4, -v2
	v_mov_b32_e32 v2, v14
	s_and_saveexec_b64 s[34:35], s[10:11]
	s_cbranch_execz .LBB3_52
; %bb.42:                               ;   in Loop: Header=BB3_20 Depth=1
	s_mul_i32 s27, s7, s33
	v_mov_b32_e32 v5, v4
	v_mov_b32_e32 v9, 0
	v_pk_mov_b32 v[6:7], v[0:1], v[0:1] op_sel:[0,1]
	s_and_saveexec_b64 s[36:37], s[12:13]
	s_cbranch_execz .LBB3_46
; %bb.43:                               ;   in Loop: Header=BB3_20 Depth=1
	s_mov_b32 s44, 0
	s_mov_b64 s[38:39], 0
	v_mov_b32_e32 v2, v13
	v_mov_b32_e32 v8, v14
	v_pk_mov_b32 v[6:7], v[0:1], v[0:1] op_sel:[0,1]
.LBB3_44:                               ;   Parent Loop BB3_20 Depth=1
                                        ; =>  This Inner Loop Header: Depth=2
	v_add_u32_e32 v22, s27, v6
	v_ashrrev_i32_e32 v23, 31, v22
	v_add_u32_e32 v24, s27, v7
	v_lshlrev_b64 v[26:27], 2, v[22:23]
	v_mov_b32_e32 v9, s41
	v_ashrrev_i32_e32 v25, 31, v24
	v_add_co_u32_e32 v26, vcc, s40, v26
	v_lshlrev_b64 v[28:29], 2, v[24:25]
	v_addc_co_u32_e32 v27, vcc, v9, v27, vcc
	v_add_co_u32_e32 v28, vcc, s40, v28
	v_addc_co_u32_e32 v29, vcc, v9, v29, vcc
	global_load_dword v30, v[26:27], off
	global_load_dword v31, v[28:29], off
	ds_read2st64_b32 v[32:33], v8 offset1:8
	v_add_u32_e32 v34, 0x400, v22
	v_ashrrev_i32_e32 v35, 31, v34
	v_add_u32_e32 v36, 0x400, v24
	v_lshlrev_b64 v[34:35], 2, v[34:35]
	v_ashrrev_i32_e32 v37, 31, v36
	v_add_co_u32_e32 v34, vcc, s40, v34
	v_lshlrev_b64 v[36:37], 2, v[36:37]
	v_addc_co_u32_e32 v35, vcc, v9, v35, vcc
	v_add_co_u32_e32 v36, vcc, s40, v36
	v_addc_co_u32_e32 v37, vcc, v9, v37, vcc
	v_add_u32_e32 v2, -4, v2
	s_add_i32 s44, s44, 8
	v_add_u32_e32 v7, 0x1000, v7
	v_add_u32_e32 v6, 0x1000, v6
	s_waitcnt vmcnt(0) lgkmcnt(0)
	v_pk_fma_f32 v[30:31], v[4:5], v[32:33], v[30:31]
	global_store_dword v[26:27], v30, off
	global_store_dword v[28:29], v31, off
	global_load_dword v26, v[34:35], off
	s_nop 0
	global_load_dword v27, v[36:37], off
	ds_read2st64_b32 v[28:29], v8 offset0:16 offset1:24
	v_add_u32_e32 v30, 0x800, v22
	v_ashrrev_i32_e32 v31, 31, v30
	v_add_u32_e32 v32, 0x800, v24
	v_lshlrev_b64 v[30:31], 2, v[30:31]
	v_ashrrev_i32_e32 v33, 31, v32
	v_add_co_u32_e32 v30, vcc, s40, v30
	v_lshlrev_b64 v[32:33], 2, v[32:33]
	v_addc_co_u32_e32 v31, vcc, v9, v31, vcc
	v_add_co_u32_e32 v32, vcc, s40, v32
	v_addc_co_u32_e32 v33, vcc, v9, v33, vcc
	v_add_u32_e32 v22, 0xc00, v22
	v_ashrrev_i32_e32 v23, 31, v22
	v_add_u32_e32 v24, 0xc00, v24
	v_lshlrev_b64 v[22:23], 2, v[22:23]
	v_ashrrev_i32_e32 v25, 31, v24
	v_add_co_u32_e32 v22, vcc, s40, v22
	v_lshlrev_b64 v[24:25], 2, v[24:25]
	v_addc_co_u32_e32 v23, vcc, v9, v23, vcc
	v_add_co_u32_e32 v24, vcc, s40, v24
	v_addc_co_u32_e32 v25, vcc, v9, v25, vcc
	v_cmp_eq_u32_e32 vcc, 0, v2
	v_mov_b32_e32 v9, s44
	s_or_b64 s[38:39], vcc, s[38:39]
	s_waitcnt vmcnt(0) lgkmcnt(0)
	v_pk_fma_f32 v[26:27], v[4:5], v[28:29], v[26:27]
	global_store_dword v[34:35], v26, off
	global_store_dword v[36:37], v27, off
	global_load_dword v26, v[30:31], off
	s_nop 0
	global_load_dword v27, v[32:33], off
	ds_read2st64_b32 v[28:29], v8 offset0:32 offset1:40
	s_waitcnt vmcnt(0) lgkmcnt(0)
	v_pk_fma_f32 v[26:27], v[4:5], v[28:29], v[26:27]
	global_store_dword v[30:31], v26, off
	global_store_dword v[32:33], v27, off
	global_load_dword v26, v[22:23], off
	s_nop 0
	global_load_dword v27, v[24:25], off
	ds_read2st64_b32 v[28:29], v8 offset0:48 offset1:56
	v_add_u32_e32 v8, 0x4000, v8
	s_waitcnt vmcnt(0) lgkmcnt(0)
	v_pk_fma_f32 v[26:27], v[4:5], v[28:29], v[26:27]
	global_store_dword v[22:23], v26, off
	global_store_dword v[24:25], v27, off
	s_andn2_b64 exec, exec, s[38:39]
	s_cbranch_execnz .LBB3_44
; %bb.45:                               ;   in Loop: Header=BB3_20 Depth=1
	s_or_b64 exec, exec, s[38:39]
.LBB3_46:                               ;   in Loop: Header=BB3_20 Depth=1
	s_or_b64 exec, exec, s[36:37]
	s_and_saveexec_b64 s[36:37], s[14:15]
	s_cbranch_execz .LBB3_49
; %bb.47:                               ;   in Loop: Header=BB3_20 Depth=1
	v_lshl_or_b32 v2, v9, 11, v14
	s_mov_b64 s[38:39], 0
	v_mov_b32_e32 v8, v12
.LBB3_48:                               ;   Parent Loop BB3_20 Depth=1
                                        ; =>  This Inner Loop Header: Depth=2
	v_add_u32_e32 v22, s27, v6
	v_ashrrev_i32_e32 v23, 31, v22
	v_add_u32_e32 v24, s27, v7
	v_lshlrev_b64 v[22:23], 2, v[22:23]
	v_mov_b32_e32 v9, s41
	v_ashrrev_i32_e32 v25, 31, v24
	v_add_co_u32_e32 v22, vcc, s40, v22
	v_lshlrev_b64 v[24:25], 2, v[24:25]
	v_addc_co_u32_e32 v23, vcc, v9, v23, vcc
	v_add_co_u32_e32 v24, vcc, s40, v24
	v_addc_co_u32_e32 v25, vcc, v9, v25, vcc
	global_load_dword v26, v[22:23], off
	global_load_dword v27, v[24:25], off
	ds_read2st64_b32 v[28:29], v2 offset1:8
	v_add_u32_e32 v8, -1, v8
	v_cmp_eq_u32_e32 vcc, 0, v8
	v_add_u32_e32 v7, 0x400, v7
	v_add_u32_e32 v6, 0x400, v6
	;; [unrolled: 1-line block ×3, first 2 shown]
	s_or_b64 s[38:39], vcc, s[38:39]
	s_waitcnt vmcnt(0) lgkmcnt(0)
	v_pk_fma_f32 v[26:27], v[4:5], v[28:29], v[26:27]
	global_store_dword v[22:23], v26, off
	global_store_dword v[24:25], v27, off
	s_andn2_b64 exec, exec, s[38:39]
	s_cbranch_execnz .LBB3_48
.LBB3_49:                               ;   in Loop: Header=BB3_20 Depth=1
	s_or_b64 exec, exec, s[36:37]
	s_mov_b64 s[36:37], 0
                                        ; implicit-def: $vgpr2
	s_and_saveexec_b64 s[38:39], s[16:17]
	s_xor_b64 s[38:39], exec, s[38:39]
; %bb.50:                               ;   in Loop: Header=BB3_20 Depth=1
	s_mov_b64 s[36:37], exec
	v_lshlrev_b32_e32 v2, 2, v11
; %bb.51:                               ;   in Loop: Header=BB3_20 Depth=1
	s_or_b64 exec, exec, s[38:39]
	s_orn2_b64 s[36:37], s[36:37], exec
	v_mov_b32_e32 v6, v11
.LBB3_52:                               ;   in Loop: Header=BB3_20 Depth=1
	s_or_b64 exec, exec, s[34:35]
	s_and_b64 exec, exec, s[36:37]
	s_cbranch_execz .LBB3_19
; %bb.53:                               ;   in Loop: Header=BB3_20 Depth=1
	v_ashrrev_i32_e32 v7, 31, v6
	s_add_u32 s27, s40, s28
	v_lshlrev_b64 v[8:9], 2, v[6:7]
	s_addc_u32 s28, s41, s29
	v_mov_b32_e32 v5, s28
	v_add_co_u32_e32 v8, vcc, s27, v8
	v_addc_co_u32_e32 v9, vcc, v5, v9, vcc
	s_mov_b64 s[28:29], 0
.LBB3_54:                               ;   Parent Loop BB3_20 Depth=1
                                        ; =>  This Inner Loop Header: Depth=2
	global_load_dword v5, v[8:9], off
	ds_read_b32 v7, v2
	v_add_u32_e32 v6, 0x200, v6
	v_cmp_le_i32_e32 vcc, s20, v6
	s_or_b64 s[28:29], vcc, s[28:29]
	v_add_u32_e32 v2, 0x800, v2
	s_waitcnt vmcnt(0) lgkmcnt(0)
	v_fmac_f32_e32 v5, v4, v7
	global_store_dword v[8:9], v5, off
	v_add_co_u32_e32 v8, vcc, 0x800, v8
	v_addc_co_u32_e32 v9, vcc, 0, v9, vcc
	s_andn2_b64 exec, exec, s[28:29]
	s_cbranch_execnz .LBB3_54
	s_branch .LBB3_19
.LBB3_55:
	s_endpgm
	.section	.rodata,"a",@progbits
	.p2align	6, 0x0
	.amdhsa_kernel _ZN9rocsolver6v33100L22larf_left_kernel_smallILi512EfiPfEEvT1_S3_T2_lS3_lPKT0_lS4_lS3_l
		.amdhsa_group_segment_fixed_size 10240
		.amdhsa_private_segment_fixed_size 0
		.amdhsa_kernarg_size 88
		.amdhsa_user_sgpr_count 6
		.amdhsa_user_sgpr_private_segment_buffer 1
		.amdhsa_user_sgpr_dispatch_ptr 0
		.amdhsa_user_sgpr_queue_ptr 0
		.amdhsa_user_sgpr_kernarg_segment_ptr 1
		.amdhsa_user_sgpr_dispatch_id 0
		.amdhsa_user_sgpr_flat_scratch_init 0
		.amdhsa_user_sgpr_kernarg_preload_length 0
		.amdhsa_user_sgpr_kernarg_preload_offset 0
		.amdhsa_user_sgpr_private_segment_size 0
		.amdhsa_uses_dynamic_stack 0
		.amdhsa_system_sgpr_private_segment_wavefront_offset 0
		.amdhsa_system_sgpr_workgroup_id_x 1
		.amdhsa_system_sgpr_workgroup_id_y 1
		.amdhsa_system_sgpr_workgroup_id_z 0
		.amdhsa_system_sgpr_workgroup_info 0
		.amdhsa_system_vgpr_workitem_id 0
		.amdhsa_next_free_vgpr 38
		.amdhsa_next_free_sgpr 45
		.amdhsa_accum_offset 40
		.amdhsa_reserve_vcc 1
		.amdhsa_reserve_flat_scratch 0
		.amdhsa_float_round_mode_32 0
		.amdhsa_float_round_mode_16_64 0
		.amdhsa_float_denorm_mode_32 3
		.amdhsa_float_denorm_mode_16_64 3
		.amdhsa_dx10_clamp 1
		.amdhsa_ieee_mode 1
		.amdhsa_fp16_overflow 0
		.amdhsa_tg_split 0
		.amdhsa_exception_fp_ieee_invalid_op 0
		.amdhsa_exception_fp_denorm_src 0
		.amdhsa_exception_fp_ieee_div_zero 0
		.amdhsa_exception_fp_ieee_overflow 0
		.amdhsa_exception_fp_ieee_underflow 0
		.amdhsa_exception_fp_ieee_inexact 0
		.amdhsa_exception_int_div_zero 0
	.end_amdhsa_kernel
	.section	.text._ZN9rocsolver6v33100L22larf_left_kernel_smallILi512EfiPfEEvT1_S3_T2_lS3_lPKT0_lS4_lS3_l,"axG",@progbits,_ZN9rocsolver6v33100L22larf_left_kernel_smallILi512EfiPfEEvT1_S3_T2_lS3_lPKT0_lS4_lS3_l,comdat
.Lfunc_end3:
	.size	_ZN9rocsolver6v33100L22larf_left_kernel_smallILi512EfiPfEEvT1_S3_T2_lS3_lPKT0_lS4_lS3_l, .Lfunc_end3-_ZN9rocsolver6v33100L22larf_left_kernel_smallILi512EfiPfEEvT1_S3_T2_lS3_lPKT0_lS4_lS3_l
                                        ; -- End function
	.section	.AMDGPU.csdata,"",@progbits
; Kernel info:
; codeLenInByte = 3492
; NumSgprs: 49
; NumVgprs: 38
; NumAgprs: 0
; TotalNumVgprs: 38
; ScratchSize: 0
; MemoryBound: 0
; FloatMode: 240
; IeeeMode: 1
; LDSByteSize: 10240 bytes/workgroup (compile time only)
; SGPRBlocks: 6
; VGPRBlocks: 4
; NumSGPRsForWavesPerEU: 49
; NumVGPRsForWavesPerEU: 38
; AccumOffset: 40
; Occupancy: 8
; WaveLimiterHint : 1
; COMPUTE_PGM_RSRC2:SCRATCH_EN: 0
; COMPUTE_PGM_RSRC2:USER_SGPR: 6
; COMPUTE_PGM_RSRC2:TRAP_HANDLER: 0
; COMPUTE_PGM_RSRC2:TGID_X_EN: 1
; COMPUTE_PGM_RSRC2:TGID_Y_EN: 1
; COMPUTE_PGM_RSRC2:TGID_Z_EN: 0
; COMPUTE_PGM_RSRC2:TIDIG_COMP_CNT: 0
; COMPUTE_PGM_RSRC3_GFX90A:ACCUM_OFFSET: 9
; COMPUTE_PGM_RSRC3_GFX90A:TG_SPLIT: 0
	.section	.text._ZN9rocsolver6v33100L22larf_left_kernel_smallILi1024EfiPfEEvT1_S3_T2_lS3_lPKT0_lS4_lS3_l,"axG",@progbits,_ZN9rocsolver6v33100L22larf_left_kernel_smallILi1024EfiPfEEvT1_S3_T2_lS3_lPKT0_lS4_lS3_l,comdat
	.globl	_ZN9rocsolver6v33100L22larf_left_kernel_smallILi1024EfiPfEEvT1_S3_T2_lS3_lPKT0_lS4_lS3_l ; -- Begin function _ZN9rocsolver6v33100L22larf_left_kernel_smallILi1024EfiPfEEvT1_S3_T2_lS3_lPKT0_lS4_lS3_l
	.p2align	8
	.type	_ZN9rocsolver6v33100L22larf_left_kernel_smallILi1024EfiPfEEvT1_S3_T2_lS3_lPKT0_lS4_lS3_l,@function
_ZN9rocsolver6v33100L22larf_left_kernel_smallILi1024EfiPfEEvT1_S3_T2_lS3_lPKT0_lS4_lS3_l: ; @_ZN9rocsolver6v33100L22larf_left_kernel_smallILi1024EfiPfEEvT1_S3_T2_lS3_lPKT0_lS4_lS3_l
; %bb.0:
	s_load_dwordx2 s[20:21], s[4:5], 0x0
	s_load_dwordx8 s[8:15], s[4:5], 0x20
	s_load_dwordx2 s[16:17], s[4:5], 0x40
	s_ashr_i32 s26, s6, 31
	s_waitcnt lgkmcnt(0)
	v_cmp_gt_i32_e64 s[0:1], s20, v0
	v_xad_u32 v4, v0, -1, s20
	s_and_saveexec_b64 s[18:19], s[0:1]
	s_cbranch_execz .LBB4_17
; %bb.1:
	s_load_dwordx4 s[36:39], s[4:5], 0x8
	s_load_dword s28, s[4:5], 0x18
	s_mul_i32 s2, s6, s9
	s_mul_hi_u32 s3, s6, s8
	s_add_i32 s2, s3, s2
	s_mul_i32 s3, s26, s8
	s_add_i32 s3, s2, s3
	s_mul_i32 s2, s6, s8
	s_lshl_b64 s[2:3], s[2:3], 2
	s_waitcnt lgkmcnt(0)
	s_add_u32 s8, s36, s2
	s_addc_u32 s9, s37, s3
	s_lshl_b64 s[2:3], s[38:39], 2
	s_add_u32 s27, s8, s2
	s_addc_u32 s29, s9, s3
	s_sub_i32 s2, 1, s20
	s_mul_i32 s2, s2, s28
	s_cmp_lt_i32 s28, 1
	s_cselect_b32 s30, s2, 0
	s_movk_i32 s2, 0x5bff
	v_cmp_lt_u32_e32 vcc, s2, v4
	s_mov_b64 s[2:3], 0
                                        ; implicit-def: $vgpr1
                                        ; implicit-def: $sgpr31
	s_and_saveexec_b64 s[8:9], vcc
	s_xor_b64 s[22:23], exec, s[8:9]
	s_cbranch_execnz .LBB4_4
; %bb.2:
	s_or_saveexec_b64 s[8:9], s[22:23]
	v_mov_b32_e32 v5, s31
	s_xor_b64 exec, exec, s[8:9]
	s_cbranch_execnz .LBB4_14
.LBB4_3:
	s_or_b64 exec, exec, s[8:9]
	s_and_b64 exec, exec, s[2:3]
	s_cbranch_execnz .LBB4_15
	s_branch .LBB4_17
.LBB4_4:
	s_lshl_b32 s31, s28, 10
	s_sub_i32 s8, 0, s31
	s_cmp_lt_i32 s31, 0
	s_cselect_b64 vcc, -1, 0
	s_and_b64 s[2:3], vcc, exec
	v_lshrrev_b32_e32 v5, 10, v4
	s_cselect_b32 s8, s8, s31
	v_mul_lo_u32 v1, v0, s28
	v_mul_hi_u32 v2, s8, v5
	v_add_u32_e32 v1, s30, v1
	v_cmp_eq_u32_e64 s[2:3], 0, v2
	v_mul_lo_u32 v2, s8, v5
	v_add_u32_e32 v3, v1, v2
	v_sub_u32_e32 v2, v1, v2
	v_cmp_gt_i32_e64 s[8:9], v2, v1
	v_cndmask_b32_e64 v2, 0, 1, s[8:9]
	v_cmp_lt_i32_e64 s[8:9], v3, v1
	v_cndmask_b32_e64 v1, 0, 1, s[8:9]
	v_cndmask_b32_e32 v1, v1, v2, vcc
	v_and_b32_e32 v1, 1, v1
	v_cmp_eq_u32_e32 vcc, 1, v1
	s_xor_b64 s[24:25], vcc, -1
	s_mov_b64 s[8:9], -1
	s_and_b64 s[24:25], s[24:25], s[2:3]
	v_mov_b32_e32 v1, v0
	s_and_saveexec_b64 s[2:3], s[24:25]
	s_cbranch_execz .LBB4_13
; %bb.5:
	v_add_u32_e32 v2, -1, v5
	v_or_b32_e32 v1, 0x400, v0
	v_lshrrev_b32_e32 v3, 1, v2
	v_add_u32_e32 v6, 1, v3
	v_cmp_lt_u32_e32 vcc, 5, v2
	v_mov_b32_e32 v10, 0
	v_pk_mov_b32 v[2:3], v[0:1], v[0:1] op_sel:[0,1]
	s_and_saveexec_b64 s[8:9], vcc
	s_cbranch_execz .LBB4_9
; %bb.6:
	v_and_b32_e32 v7, -4, v6
	v_lshlrev_b32_e32 v8, 2, v0
	s_mov_b32 s33, 0
	s_mov_b64 s[24:25], 0
	v_mov_b32_e32 v9, s29
	v_pk_mov_b32 v[2:3], v[0:1], v[0:1] op_sel:[0,1]
.LBB4_7:                                ; =>This Inner Loop Header: Depth=1
	v_mul_lo_u32 v10, v2, s28
	v_add_u32_e32 v11, 0x800, v2
	v_add_u32_e32 v10, s30, v10
	v_mul_lo_u32 v1, v3, s28
	v_mul_lo_u32 v18, v11, s28
	v_ashrrev_i32_e32 v11, 31, v10
	v_add_u32_e32 v13, 0x800, v3
	v_add_u32_e32 v12, s30, v1
	v_lshlrev_b64 v[10:11], 2, v[10:11]
	v_add_u32_e32 v14, 0x1000, v2
	v_add_u32_e32 v15, 0x1000, v3
	v_mul_lo_u32 v1, v13, s28
	v_ashrrev_i32_e32 v13, 31, v12
	v_add_co_u32_e32 v10, vcc, s27, v10
	v_mul_lo_u32 v15, v15, s28
	v_mul_lo_u32 v19, v14, s28
	v_add_u32_e32 v14, s30, v18
	v_lshlrev_b64 v[12:13], 2, v[12:13]
	v_addc_co_u32_e32 v11, vcc, v9, v11, vcc
	v_add_u32_e32 v16, 0x1800, v2
	v_add_u32_e32 v17, 0x1800, v3
	;; [unrolled: 1-line block ×3, first 2 shown]
	v_ashrrev_i32_e32 v15, 31, v14
	v_add_co_u32_e32 v12, vcc, s27, v12
	v_mul_lo_u32 v17, v17, s28
	v_mul_lo_u32 v21, v16, s28
	v_add_u32_e32 v16, s30, v1
	v_addc_co_u32_e32 v13, vcc, v9, v13, vcc
	v_lshlrev_b64 v[14:15], 2, v[14:15]
	v_add_u32_e32 v24, s30, v17
	v_ashrrev_i32_e32 v17, 31, v16
	v_add_co_u32_e32 v14, vcc, s27, v14
	v_add_u32_e32 v18, s30, v19
	v_lshlrev_b64 v[16:17], 2, v[16:17]
	v_addc_co_u32_e32 v15, vcc, v9, v15, vcc
	v_ashrrev_i32_e32 v19, 31, v18
	v_add_co_u32_e32 v16, vcc, s27, v16
	v_lshlrev_b64 v[18:19], 2, v[18:19]
	v_addc_co_u32_e32 v17, vcc, v9, v17, vcc
	v_add_u32_e32 v22, s30, v21
	v_ashrrev_i32_e32 v21, 31, v20
	v_add_co_u32_e32 v18, vcc, s27, v18
	v_lshlrev_b64 v[20:21], 2, v[20:21]
	v_addc_co_u32_e32 v19, vcc, v9, v19, vcc
	v_ashrrev_i32_e32 v23, 31, v22
	v_add_co_u32_e32 v20, vcc, s27, v20
	v_lshlrev_b64 v[22:23], 2, v[22:23]
	v_addc_co_u32_e32 v21, vcc, v9, v21, vcc
	;; [unrolled: 4-line block ×3, first 2 shown]
	v_add_co_u32_e32 v24, vcc, s27, v24
	v_addc_co_u32_e32 v25, vcc, v9, v25, vcc
	global_load_dword v1, v[10:11], off
	global_load_dword v26, v[12:13], off
	;; [unrolled: 1-line block ×8, first 2 shown]
	v_add_u32_e32 v7, -4, v7
	s_add_i32 s33, s33, 8
	v_cmp_eq_u32_e32 vcc, 0, v7
	v_add_u32_e32 v3, 0x2000, v3
	v_add_u32_e32 v2, 0x2000, v2
	v_mov_b32_e32 v10, s33
	s_or_b64 s[24:25], vcc, s[24:25]
	s_waitcnt vmcnt(6)
	ds_write2st64_b32 v8, v1, v26 offset1:16
	s_waitcnt vmcnt(4)
	ds_write2st64_b32 v8, v27, v28 offset0:32 offset1:48
	s_waitcnt vmcnt(2)
	ds_write2st64_b32 v8, v29, v30 offset0:64 offset1:80
	;; [unrolled: 2-line block ×3, first 2 shown]
	v_add_u32_e32 v8, 0x8000, v8
	s_andn2_b64 exec, exec, s[24:25]
	s_cbranch_execnz .LBB4_7
; %bb.8:
	s_or_b64 exec, exec, s[24:25]
.LBB4_9:
	s_or_b64 exec, exec, s[8:9]
	v_and_b32_e32 v1, 3, v6
	v_cmp_ne_u32_e32 vcc, 0, v1
	s_and_saveexec_b64 s[8:9], vcc
	s_cbranch_execz .LBB4_12
; %bb.10:
	v_lshlrev_b32_e32 v6, 2, v0
	v_lshl_or_b32 v6, v10, 12, v6
	s_mov_b64 s[24:25], 0
	v_mov_b32_e32 v7, s29
.LBB4_11:                               ; =>This Inner Loop Header: Depth=1
	v_mul_lo_u32 v8, v2, s28
	v_mul_lo_u32 v9, v3, s28
	v_add_u32_e32 v8, s30, v8
	v_add_u32_e32 v10, s30, v9
	v_ashrrev_i32_e32 v9, 31, v8
	v_lshlrev_b64 v[8:9], 2, v[8:9]
	v_ashrrev_i32_e32 v11, 31, v10
	v_add_co_u32_e32 v8, vcc, s27, v8
	v_lshlrev_b64 v[10:11], 2, v[10:11]
	v_addc_co_u32_e32 v9, vcc, v7, v9, vcc
	v_add_co_u32_e32 v10, vcc, s27, v10
	v_addc_co_u32_e32 v11, vcc, v7, v11, vcc
	global_load_dword v12, v[8:9], off
	global_load_dword v13, v[10:11], off
	v_add_u32_e32 v1, -1, v1
	v_cmp_eq_u32_e32 vcc, 0, v1
	v_add_u32_e32 v3, 0x800, v3
	v_add_u32_e32 v2, 0x800, v2
	s_or_b64 s[24:25], vcc, s[24:25]
	s_waitcnt vmcnt(0)
	ds_write2st64_b32 v6, v12, v13 offset1:16
	v_add_u32_e32 v6, 0x2000, v6
	s_andn2_b64 exec, exec, s[24:25]
	s_cbranch_execnz .LBB4_11
.LBB4_12:
	s_or_b64 exec, exec, s[8:9]
	v_add_u32_e32 v2, 1, v5
	v_and_b32_e32 v3, 0x7ffffe, v2
	v_cmp_ne_u32_e32 vcc, v2, v3
	v_lshl_or_b32 v1, v3, 10, v0
	s_orn2_b64 s[8:9], vcc, exec
.LBB4_13:
	s_or_b64 exec, exec, s[2:3]
	s_and_b64 s[2:3], s[8:9], exec
	s_or_saveexec_b64 s[8:9], s[22:23]
	v_mov_b32_e32 v5, s31
	s_xor_b64 exec, exec, s[8:9]
	s_cbranch_execz .LBB4_3
.LBB4_14:
	s_lshl_b32 s22, s28, 10
	v_mov_b32_e32 v5, s22
	s_or_b64 s[2:3], s[2:3], exec
	v_mov_b32_e32 v1, v0
	s_or_b64 exec, exec, s[8:9]
	s_and_b64 exec, exec, s[2:3]
	s_cbranch_execz .LBB4_17
.LBB4_15:
	v_mul_lo_u32 v2, v1, s28
	v_add_u32_e32 v2, s30, v2
	v_lshlrev_b32_e32 v6, 2, v1
	s_mov_b64 s[2:3], 0
	v_mov_b32_e32 v7, s29
.LBB4_16:                               ; =>This Inner Loop Header: Depth=1
	v_ashrrev_i32_e32 v3, 31, v2
	v_lshlrev_b64 v[8:9], 2, v[2:3]
	v_add_co_u32_e32 v8, vcc, s27, v8
	v_addc_co_u32_e32 v9, vcc, v7, v9, vcc
	global_load_dword v3, v[8:9], off
	v_add_u32_e32 v1, 0x400, v1
	v_cmp_le_i32_e32 vcc, s20, v1
	v_add_u32_e32 v2, v2, v5
	s_or_b64 s[2:3], vcc, s[2:3]
	s_waitcnt vmcnt(0)
	ds_write_b32 v6, v3
	v_add_u32_e32 v6, 0x1000, v6
	s_andn2_b64 exec, exec, s[2:3]
	s_cbranch_execnz .LBB4_16
.LBB4_17:
	s_or_b64 exec, exec, s[18:19]
	s_cmp_ge_i32 s7, s21
	s_waitcnt lgkmcnt(0)
	s_barrier
	s_cbranch_scc1 .LBB4_55
; %bb.18:
	s_load_dwordx2 s[2:3], s[4:5], 0x50
	s_load_dword s33, s[4:5], 0x48
	v_and_b32_e32 v1, 63, v0
	v_lshlrev_b32_e32 v14, 2, v0
	v_lshrrev_b32_e32 v10, 4, v0
	s_waitcnt lgkmcnt(0)
	s_mul_i32 s3, s6, s3
	s_mul_hi_u32 s4, s6, s2
	s_mul_i32 s5, s26, s2
	s_add_i32 s3, s4, s3
	s_mul_i32 s2, s6, s2
	s_add_i32 s3, s3, s5
	s_lshl_b64 s[2:3], s[2:3], 2
	s_lshl_b64 s[4:5], s[16:17], 2
	s_add_u32 s2, s2, s4
	s_addc_u32 s3, s3, s5
	s_add_u32 s40, s14, s2
	s_addc_u32 s41, s15, s3
	s_mul_i32 s2, s6, s13
	s_mul_hi_u32 s3, s6, s12
	s_add_i32 s2, s3, s2
	s_mul_i32 s3, s26, s12
	s_add_i32 s3, s2, s3
	s_mul_i32 s2, s6, s12
	s_lshl_b64 s[2:3], s[2:3], 2
	s_add_u32 s22, s10, s2
	s_addc_u32 s23, s11, s3
	v_cmp_eq_u32_e64 s[2:3], 0, v1
	v_lshrrev_b32_e32 v1, 10, v4
	s_movk_i32 s6, 0x1bff
	v_add_u32_e32 v2, 1, v1
	v_add_u32_e32 v3, -1, v1
	v_cmp_lt_u32_e64 s[8:9], s6, v4
	s_movk_i32 s6, 0x3ff
	s_cmp_gt_i32 s20, 1
	v_lshrrev_b32_e32 v1, 1, v3
	v_cmp_lt_u32_e64 s[10:11], s6, v4
	v_and_b32_e32 v4, 0x7ffffe, v2
	s_cselect_b64 s[24:25], -1, 0
	v_add_u32_e32 v5, 1, v1
	v_and_b32_e32 v6, 7, v2
	v_cmp_ne_u32_e64 s[16:17], v2, v4
	v_mov_b32_e32 v2, s41
	v_add_co_u32_e32 v15, vcc, s40, v14
	s_lshl_b32 s6, s33, 6
	v_and_b32_e32 v12, 3, v5
	v_addc_co_u32_e32 v16, vcc, 0, v2, vcc
	s_add_u32 s42, s40, 0x7000
	v_mbcnt_lo_u32_b32 v2, -1, 0
	v_cmp_eq_u32_e64 s[4:5], 0, v0
	v_cmp_ne_u32_e64 s[18:19], 0, v6
	v_lshl_or_b32 v11, v4, 10, v0
	v_or_b32_e32 v1, 0x400, v0
	v_cmp_lt_u32_e64 s[12:13], 5, v3
	v_and_b32_e32 v13, -4, v5
	v_cmp_ne_u32_e64 s[14:15], 0, v12
	v_mov_b32_e32 v3, 0
	s_mul_i32 s26, s7, s33
	v_lshlrev_b32_e32 v17, 2, v6
	s_addc_u32 s43, s41, 0
	v_mov_b32_e32 v18, 0x2004
	v_mov_b32_e32 v19, 0x200c
	;; [unrolled: 1-line block ×7, first 2 shown]
	v_mbcnt_hi_u32_b32 v25, -1, v2
	s_branch .LBB4_20
.LBB4_19:                               ;   in Loop: Header=BB4_20 Depth=1
	s_or_b64 exec, exec, s[30:31]
	s_add_i32 s7, s7, 64
	s_add_i32 s26, s26, s6
	s_cmp_ge_i32 s7, s21
	s_cbranch_scc1 .LBB4_55
.LBB4_20:                               ; =>This Loop Header: Depth=1
                                        ;     Child Loop BB4_23 Depth 2
                                        ;     Child Loop BB4_27 Depth 2
	;; [unrolled: 1-line block ×5, first 2 shown]
	s_ashr_i32 s27, s26, 31
	s_lshl_b64 s[28:29], s[26:27], 2
	v_mov_b32_e32 v6, 0
	s_and_saveexec_b64 s[30:31], s[0:1]
	s_cbranch_execz .LBB4_30
; %bb.21:                               ;   in Loop: Header=BB4_20 Depth=1
	v_mov_b32_e32 v6, 0
	v_mov_b32_e32 v2, v0
	s_and_saveexec_b64 s[34:35], s[18:19]
	s_cbranch_execz .LBB4_25
; %bb.22:                               ;   in Loop: Header=BB4_20 Depth=1
	v_mov_b32_e32 v2, s29
	v_add_co_u32_e32 v4, vcc, s28, v15
	v_addc_co_u32_e32 v5, vcc, v16, v2, vcc
	s_mov_b64 s[36:37], 0
	v_mov_b32_e32 v6, 0
	v_mov_b32_e32 v7, v17
	v_mov_b32_e32 v8, v14
	v_mov_b32_e32 v2, v0
.LBB4_23:                               ;   Parent Loop BB4_20 Depth=1
                                        ; =>  This Inner Loop Header: Depth=2
	global_load_dword v9, v[4:5], off
	ds_read_b32 v26, v8
	v_add_co_u32_e32 v4, vcc, 0x1000, v4
	v_add_u32_e32 v7, -4, v7
	v_addc_co_u32_e32 v5, vcc, 0, v5, vcc
	v_cmp_eq_u32_e32 vcc, 0, v7
	v_add_u32_e32 v2, 0x400, v2
	v_add_u32_e32 v8, 0x1000, v8
	s_or_b64 s[36:37], vcc, s[36:37]
	s_waitcnt vmcnt(0) lgkmcnt(0)
	v_mul_f32_e32 v9, v26, v9
	v_add_f32_e32 v6, v6, v9
	s_andn2_b64 exec, exec, s[36:37]
	s_cbranch_execnz .LBB4_23
; %bb.24:                               ;   in Loop: Header=BB4_20 Depth=1
	s_or_b64 exec, exec, s[36:37]
.LBB4_25:                               ;   in Loop: Header=BB4_20 Depth=1
	s_or_b64 exec, exec, s[34:35]
	s_and_saveexec_b64 s[34:35], s[8:9]
	s_cbranch_execz .LBB4_29
; %bb.26:                               ;   in Loop: Header=BB4_20 Depth=1
	s_add_u32 s27, s42, s28
	v_lshlrev_b64 v[4:5], 2, v[2:3]
	s_addc_u32 s36, s43, s29
	v_mov_b32_e32 v7, s36
	v_add_co_u32_e32 v4, vcc, s27, v4
	v_addc_co_u32_e32 v5, vcc, v7, v5, vcc
	v_lshlrev_b32_e32 v7, 2, v2
	s_mov_b64 s[36:37], 0
.LBB4_27:                               ;   Parent Loop BB4_20 Depth=1
                                        ; =>  This Inner Loop Header: Depth=2
	v_add_co_u32_e32 v8, vcc, 0xffff9000, v4
	v_addc_co_u32_e32 v9, vcc, -1, v5, vcc
	v_add_co_u32_e32 v26, vcc, 0xffffa000, v4
	v_addc_co_u32_e32 v27, vcc, -1, v5, vcc
	global_load_dword v32, v[8:9], off
	v_add_co_u32_e32 v8, vcc, 0xffffb000, v4
	v_addc_co_u32_e32 v9, vcc, -1, v5, vcc
	v_add_co_u32_e32 v28, vcc, 0xffffc000, v4
	global_load_dword v33, v[26:27], off
	global_load_dword v34, v[8:9], off
	v_addc_co_u32_e32 v29, vcc, -1, v5, vcc
	v_add_co_u32_e32 v8, vcc, 0xffffd000, v4
	v_addc_co_u32_e32 v9, vcc, -1, v5, vcc
	global_load_dword v35, v[28:29], off
	global_load_dword v36, v[8:9], off
	v_add_co_u32_e32 v26, vcc, 0xffffe000, v4
	v_addc_co_u32_e32 v27, vcc, -1, v5, vcc
	global_load_dword v37, v[26:27], off
	global_load_dword v38, v[4:5], off offset:-4096
	global_load_dword v39, v[4:5], off
	ds_read2st64_b32 v[8:9], v7 offset1:16
	ds_read2st64_b32 v[26:27], v7 offset0:32 offset1:48
	ds_read2st64_b32 v[28:29], v7 offset0:64 offset1:80
	;; [unrolled: 1-line block ×3, first 2 shown]
	v_add_u32_e32 v2, 0x2000, v2
	v_cmp_le_i32_e32 vcc, s20, v2
	s_or_b64 s[36:37], vcc, s[36:37]
	v_add_co_u32_e32 v4, vcc, 0x8000, v4
	v_add_u32_e32 v7, 0x8000, v7
	v_addc_co_u32_e32 v5, vcc, 0, v5, vcc
	s_waitcnt vmcnt(7) lgkmcnt(3)
	v_mul_f32_e32 v8, v8, v32
	v_add_f32_e32 v6, v6, v8
	s_waitcnt vmcnt(6)
	v_mul_f32_e32 v8, v9, v33
	v_add_f32_e32 v6, v6, v8
	s_waitcnt vmcnt(5) lgkmcnt(2)
	v_mul_f32_e32 v8, v26, v34
	v_add_f32_e32 v6, v6, v8
	s_waitcnt vmcnt(4)
	v_mul_f32_e32 v8, v27, v35
	v_add_f32_e32 v6, v6, v8
	s_waitcnt vmcnt(3) lgkmcnt(1)
	v_mul_f32_e32 v8, v28, v36
	v_add_f32_e32 v6, v6, v8
	s_waitcnt vmcnt(2)
	v_mul_f32_e32 v8, v29, v37
	s_waitcnt vmcnt(1) lgkmcnt(0)
	v_mul_f32_e32 v9, v30, v38
	v_add_f32_e32 v6, v6, v8
	s_waitcnt vmcnt(0)
	v_mul_f32_e32 v26, v31, v39
	v_add_f32_e32 v6, v6, v9
	v_add_f32_e32 v6, v6, v26
	s_andn2_b64 exec, exec, s[36:37]
	s_cbranch_execnz .LBB4_27
; %bb.28:                               ;   in Loop: Header=BB4_20 Depth=1
	s_or_b64 exec, exec, s[36:37]
.LBB4_29:                               ;   in Loop: Header=BB4_20 Depth=1
	s_or_b64 exec, exec, s[34:35]
.LBB4_30:                               ;   in Loop: Header=BB4_20 Depth=1
	s_or_b64 exec, exec, s[30:31]
	s_and_b64 vcc, exec, s[24:25]
	s_cbranch_vccz .LBB4_37
; %bb.31:                               ;   in Loop: Header=BB4_20 Depth=1
	v_and_b32_e32 v2, 63, v25
	v_cmp_ne_u32_e32 vcc, 63, v2
	v_addc_co_u32_e32 v4, vcc, 0, v25, vcc
	v_lshlrev_b32_e32 v4, 2, v4
	ds_bpermute_b32 v4, v4, v6
	v_cmp_gt_u32_e32 vcc, 62, v2
	v_cndmask_b32_e64 v5, 0, 1, vcc
	v_lshlrev_b32_e32 v5, 1, v5
	v_add_lshl_u32 v5, v5, v25, 2
	s_waitcnt lgkmcnt(0)
	v_add_f32_e32 v4, v6, v4
	ds_bpermute_b32 v5, v5, v4
	v_cmp_gt_u32_e32 vcc, 60, v2
	v_cndmask_b32_e64 v7, 0, 1, vcc
	v_cmp_gt_u32_e32 vcc, 56, v2
	s_waitcnt lgkmcnt(0)
	v_add_f32_e32 v4, v4, v5
	v_lshlrev_b32_e32 v5, 2, v7
	v_add_lshl_u32 v5, v5, v25, 2
	ds_bpermute_b32 v5, v5, v4
	v_cndmask_b32_e64 v7, 0, 1, vcc
	v_cmp_gt_u32_e32 vcc, 48, v2
	s_waitcnt lgkmcnt(0)
	v_add_f32_e32 v4, v4, v5
	v_lshlrev_b32_e32 v5, 3, v7
	v_add_lshl_u32 v5, v5, v25, 2
	ds_bpermute_b32 v5, v5, v4
	v_cndmask_b32_e64 v7, 0, 1, vcc
	v_cmp_gt_u32_e32 vcc, 32, v2
	v_cndmask_b32_e64 v2, 0, 1, vcc
	v_lshlrev_b32_e32 v2, 5, v2
	s_waitcnt lgkmcnt(0)
	v_add_f32_e32 v4, v4, v5
	v_lshlrev_b32_e32 v5, 4, v7
	v_add_lshl_u32 v5, v5, v25, 2
	ds_bpermute_b32 v5, v5, v4
	v_add_lshl_u32 v2, v2, v25, 2
	s_waitcnt lgkmcnt(0)
	v_add_f32_e32 v4, v4, v5
	ds_bpermute_b32 v2, v2, v4
	s_waitcnt lgkmcnt(0)
	v_add_f32_e32 v2, v4, v2
	s_and_saveexec_b64 s[30:31], s[2:3]
	s_cbranch_execz .LBB4_33
; %bb.32:                               ;   in Loop: Header=BB4_20 Depth=1
	ds_write_b32 v10, v2 offset:8192
.LBB4_33:                               ;   in Loop: Header=BB4_20 Depth=1
	s_or_b64 exec, exec, s[30:31]
	s_mov_b64 s[34:35], 0
	s_mov_b64 s[30:31], 0
	s_waitcnt lgkmcnt(0)
	s_barrier
	s_waitcnt lgkmcnt(0)
                                        ; implicit-def: $vgpr4
	s_and_saveexec_b64 s[36:37], s[4:5]
	s_xor_b64 s[36:37], exec, s[36:37]
	s_cbranch_execz .LBB4_35
; %bb.34:                               ;   in Loop: Header=BB4_20 Depth=1
	ds_read2_b32 v[4:5], v18 offset1:1
	ds_read2_b32 v[8:9], v19 offset1:1
	;; [unrolled: 1-line block ×4, first 2 shown]
	s_mov_b64 s[30:31], exec
	s_waitcnt lgkmcnt(3)
	v_add_f32_e32 v2, v2, v4
	v_add_f32_e32 v2, v2, v5
	s_waitcnt lgkmcnt(2)
	v_add_f32_e32 v2, v2, v8
	v_add_f32_e32 v2, v2, v9
	ds_read2_b32 v[4:5], v22 offset1:1
	s_waitcnt lgkmcnt(2)
	v_add_f32_e32 v2, v2, v26
	v_add_f32_e32 v2, v2, v27
	s_waitcnt lgkmcnt(1)
	v_add_f32_e32 v2, v2, v28
	v_add_f32_e32 v2, v2, v29
	ds_read2_b32 v[8:9], v23 offset1:1
	ds_read2_b32 v[26:27], v24 offset1:1
	ds_read_b32 v7, v3 offset:8252
	s_waitcnt lgkmcnt(3)
	v_add_f32_e32 v2, v2, v4
	v_add_f32_e32 v2, v2, v5
	s_waitcnt lgkmcnt(2)
	v_add_f32_e32 v2, v2, v8
	v_add_f32_e32 v2, v2, v9
	;; [unrolled: 3-line block ×3, first 2 shown]
	s_waitcnt lgkmcnt(0)
	v_add_f32_e32 v4, v2, v7
.LBB4_35:                               ;   in Loop: Header=BB4_20 Depth=1
	s_or_b64 exec, exec, s[36:37]
	s_and_b64 vcc, exec, s[34:35]
	s_cbranch_vccnz .LBB4_38
.LBB4_36:                               ;   in Loop: Header=BB4_20 Depth=1
	v_mov_b32_e32 v6, v4
	s_and_saveexec_b64 s[34:35], s[30:31]
	s_cbranch_execnz .LBB4_39
	s_branch .LBB4_40
.LBB4_37:                               ;   in Loop: Header=BB4_20 Depth=1
	s_mov_b64 s[30:31], 0
                                        ; implicit-def: $vgpr4
	s_cbranch_execz .LBB4_36
.LBB4_38:                               ;   in Loop: Header=BB4_20 Depth=1
	s_andn2_b64 s[30:31], s[30:31], exec
	s_and_b64 s[34:35], s[4:5], exec
	s_or_b64 s[30:31], s[30:31], s[34:35]
	s_and_saveexec_b64 s[34:35], s[30:31]
	s_cbranch_execz .LBB4_40
.LBB4_39:                               ;   in Loop: Header=BB4_20 Depth=1
	ds_write_b32 v3, v6 offset:8192
.LBB4_40:                               ;   in Loop: Header=BB4_20 Depth=1
	s_or_b64 exec, exec, s[34:35]
	s_waitcnt lgkmcnt(0)
	s_barrier
	s_and_saveexec_b64 s[30:31], s[0:1]
	s_cbranch_execz .LBB4_19
; %bb.41:                               ;   in Loop: Header=BB4_20 Depth=1
	global_load_dword v2, v3, s[22:23]
	ds_read_b32 v4, v3 offset:8192
	s_mov_b64 s[36:37], -1
	v_mov_b32_e32 v6, v0
	s_waitcnt vmcnt(0) lgkmcnt(0)
	v_mul_f32_e64 v4, v4, -v2
	v_mov_b32_e32 v2, v14
	s_and_saveexec_b64 s[34:35], s[10:11]
	s_cbranch_execz .LBB4_52
; %bb.42:                               ;   in Loop: Header=BB4_20 Depth=1
	s_mul_i32 s27, s7, s33
	v_mov_b32_e32 v5, v4
	v_mov_b32_e32 v9, 0
	v_pk_mov_b32 v[6:7], v[0:1], v[0:1] op_sel:[0,1]
	s_and_saveexec_b64 s[36:37], s[12:13]
	s_cbranch_execz .LBB4_46
; %bb.43:                               ;   in Loop: Header=BB4_20 Depth=1
	s_mov_b32 s44, 0
	s_mov_b64 s[38:39], 0
	v_mov_b32_e32 v2, v13
	v_mov_b32_e32 v8, v14
	v_pk_mov_b32 v[6:7], v[0:1], v[0:1] op_sel:[0,1]
.LBB4_44:                               ;   Parent Loop BB4_20 Depth=1
                                        ; =>  This Inner Loop Header: Depth=2
	v_add_u32_e32 v26, s27, v6
	v_ashrrev_i32_e32 v27, 31, v26
	v_add_u32_e32 v28, s27, v7
	v_lshlrev_b64 v[30:31], 2, v[26:27]
	v_mov_b32_e32 v9, s41
	v_ashrrev_i32_e32 v29, 31, v28
	v_add_co_u32_e32 v30, vcc, s40, v30
	v_lshlrev_b64 v[32:33], 2, v[28:29]
	v_addc_co_u32_e32 v31, vcc, v9, v31, vcc
	v_add_co_u32_e32 v32, vcc, s40, v32
	v_addc_co_u32_e32 v33, vcc, v9, v33, vcc
	global_load_dword v34, v[30:31], off
	global_load_dword v35, v[32:33], off
	ds_read2st64_b32 v[36:37], v8 offset1:16
	v_add_u32_e32 v38, 0x800, v26
	v_ashrrev_i32_e32 v39, 31, v38
	v_add_u32_e32 v40, 0x800, v28
	v_lshlrev_b64 v[38:39], 2, v[38:39]
	v_ashrrev_i32_e32 v41, 31, v40
	v_add_co_u32_e32 v38, vcc, s40, v38
	v_lshlrev_b64 v[40:41], 2, v[40:41]
	v_addc_co_u32_e32 v39, vcc, v9, v39, vcc
	v_add_co_u32_e32 v40, vcc, s40, v40
	v_addc_co_u32_e32 v41, vcc, v9, v41, vcc
	v_add_u32_e32 v2, -4, v2
	s_add_i32 s44, s44, 8
	v_add_u32_e32 v7, 0x2000, v7
	v_add_u32_e32 v6, 0x2000, v6
	s_waitcnt vmcnt(0) lgkmcnt(0)
	v_pk_fma_f32 v[34:35], v[4:5], v[36:37], v[34:35]
	global_store_dword v[30:31], v34, off
	global_store_dword v[32:33], v35, off
	global_load_dword v30, v[38:39], off
	s_nop 0
	global_load_dword v31, v[40:41], off
	ds_read2st64_b32 v[32:33], v8 offset0:32 offset1:48
	v_add_u32_e32 v34, 0x1000, v26
	v_ashrrev_i32_e32 v35, 31, v34
	v_add_u32_e32 v36, 0x1000, v28
	v_lshlrev_b64 v[34:35], 2, v[34:35]
	v_ashrrev_i32_e32 v37, 31, v36
	v_add_co_u32_e32 v34, vcc, s40, v34
	v_lshlrev_b64 v[36:37], 2, v[36:37]
	v_addc_co_u32_e32 v35, vcc, v9, v35, vcc
	v_add_co_u32_e32 v36, vcc, s40, v36
	v_addc_co_u32_e32 v37, vcc, v9, v37, vcc
	v_add_u32_e32 v26, 0x1800, v26
	v_ashrrev_i32_e32 v27, 31, v26
	v_add_u32_e32 v28, 0x1800, v28
	v_lshlrev_b64 v[26:27], 2, v[26:27]
	v_ashrrev_i32_e32 v29, 31, v28
	v_add_co_u32_e32 v26, vcc, s40, v26
	v_lshlrev_b64 v[28:29], 2, v[28:29]
	v_addc_co_u32_e32 v27, vcc, v9, v27, vcc
	v_add_co_u32_e32 v28, vcc, s40, v28
	v_addc_co_u32_e32 v29, vcc, v9, v29, vcc
	v_cmp_eq_u32_e32 vcc, 0, v2
	v_mov_b32_e32 v9, s44
	s_or_b64 s[38:39], vcc, s[38:39]
	s_waitcnt vmcnt(0) lgkmcnt(0)
	v_pk_fma_f32 v[30:31], v[4:5], v[32:33], v[30:31]
	global_store_dword v[38:39], v30, off
	global_store_dword v[40:41], v31, off
	global_load_dword v30, v[34:35], off
	s_nop 0
	global_load_dword v31, v[36:37], off
	ds_read2st64_b32 v[32:33], v8 offset0:64 offset1:80
	s_waitcnt vmcnt(0) lgkmcnt(0)
	v_pk_fma_f32 v[30:31], v[4:5], v[32:33], v[30:31]
	global_store_dword v[34:35], v30, off
	global_store_dword v[36:37], v31, off
	global_load_dword v30, v[26:27], off
	s_nop 0
	global_load_dword v31, v[28:29], off
	ds_read2st64_b32 v[32:33], v8 offset0:96 offset1:112
	v_add_u32_e32 v8, 0x8000, v8
	s_waitcnt vmcnt(0) lgkmcnt(0)
	v_pk_fma_f32 v[30:31], v[4:5], v[32:33], v[30:31]
	global_store_dword v[26:27], v30, off
	global_store_dword v[28:29], v31, off
	s_andn2_b64 exec, exec, s[38:39]
	s_cbranch_execnz .LBB4_44
; %bb.45:                               ;   in Loop: Header=BB4_20 Depth=1
	s_or_b64 exec, exec, s[38:39]
.LBB4_46:                               ;   in Loop: Header=BB4_20 Depth=1
	s_or_b64 exec, exec, s[36:37]
	s_and_saveexec_b64 s[36:37], s[14:15]
	s_cbranch_execz .LBB4_49
; %bb.47:                               ;   in Loop: Header=BB4_20 Depth=1
	v_lshl_or_b32 v2, v9, 12, v14
	s_mov_b64 s[38:39], 0
	v_mov_b32_e32 v8, v12
.LBB4_48:                               ;   Parent Loop BB4_20 Depth=1
                                        ; =>  This Inner Loop Header: Depth=2
	v_add_u32_e32 v26, s27, v6
	v_ashrrev_i32_e32 v27, 31, v26
	v_add_u32_e32 v28, s27, v7
	v_lshlrev_b64 v[26:27], 2, v[26:27]
	v_mov_b32_e32 v9, s41
	v_ashrrev_i32_e32 v29, 31, v28
	v_add_co_u32_e32 v26, vcc, s40, v26
	v_lshlrev_b64 v[28:29], 2, v[28:29]
	v_addc_co_u32_e32 v27, vcc, v9, v27, vcc
	v_add_co_u32_e32 v28, vcc, s40, v28
	v_addc_co_u32_e32 v29, vcc, v9, v29, vcc
	global_load_dword v30, v[26:27], off
	global_load_dword v31, v[28:29], off
	ds_read2st64_b32 v[32:33], v2 offset1:16
	v_add_u32_e32 v8, -1, v8
	v_cmp_eq_u32_e32 vcc, 0, v8
	v_add_u32_e32 v7, 0x800, v7
	v_add_u32_e32 v6, 0x800, v6
	;; [unrolled: 1-line block ×3, first 2 shown]
	s_or_b64 s[38:39], vcc, s[38:39]
	s_waitcnt vmcnt(0) lgkmcnt(0)
	v_pk_fma_f32 v[30:31], v[4:5], v[32:33], v[30:31]
	global_store_dword v[26:27], v30, off
	global_store_dword v[28:29], v31, off
	s_andn2_b64 exec, exec, s[38:39]
	s_cbranch_execnz .LBB4_48
.LBB4_49:                               ;   in Loop: Header=BB4_20 Depth=1
	s_or_b64 exec, exec, s[36:37]
	s_mov_b64 s[36:37], 0
                                        ; implicit-def: $vgpr2
	s_and_saveexec_b64 s[38:39], s[16:17]
	s_xor_b64 s[38:39], exec, s[38:39]
; %bb.50:                               ;   in Loop: Header=BB4_20 Depth=1
	s_mov_b64 s[36:37], exec
	v_lshlrev_b32_e32 v2, 2, v11
; %bb.51:                               ;   in Loop: Header=BB4_20 Depth=1
	s_or_b64 exec, exec, s[38:39]
	s_orn2_b64 s[36:37], s[36:37], exec
	v_mov_b32_e32 v6, v11
.LBB4_52:                               ;   in Loop: Header=BB4_20 Depth=1
	s_or_b64 exec, exec, s[34:35]
	s_and_b64 exec, exec, s[36:37]
	s_cbranch_execz .LBB4_19
; %bb.53:                               ;   in Loop: Header=BB4_20 Depth=1
	v_ashrrev_i32_e32 v7, 31, v6
	s_add_u32 s27, s40, s28
	v_lshlrev_b64 v[8:9], 2, v[6:7]
	s_addc_u32 s28, s41, s29
	v_mov_b32_e32 v5, s28
	v_add_co_u32_e32 v8, vcc, s27, v8
	v_addc_co_u32_e32 v9, vcc, v5, v9, vcc
	s_mov_b64 s[28:29], 0
.LBB4_54:                               ;   Parent Loop BB4_20 Depth=1
                                        ; =>  This Inner Loop Header: Depth=2
	global_load_dword v5, v[8:9], off
	ds_read_b32 v7, v2
	v_add_u32_e32 v6, 0x400, v6
	v_cmp_le_i32_e32 vcc, s20, v6
	s_or_b64 s[28:29], vcc, s[28:29]
	v_add_u32_e32 v2, 0x1000, v2
	s_waitcnt vmcnt(0) lgkmcnt(0)
	v_fmac_f32_e32 v5, v4, v7
	global_store_dword v[8:9], v5, off
	v_add_co_u32_e32 v8, vcc, 0x1000, v8
	v_addc_co_u32_e32 v9, vcc, 0, v9, vcc
	s_andn2_b64 exec, exec, s[28:29]
	s_cbranch_execnz .LBB4_54
	s_branch .LBB4_19
.LBB4_55:
	s_endpgm
	.section	.rodata,"a",@progbits
	.p2align	6, 0x0
	.amdhsa_kernel _ZN9rocsolver6v33100L22larf_left_kernel_smallILi1024EfiPfEEvT1_S3_T2_lS3_lPKT0_lS4_lS3_l
		.amdhsa_group_segment_fixed_size 12288
		.amdhsa_private_segment_fixed_size 0
		.amdhsa_kernarg_size 88
		.amdhsa_user_sgpr_count 6
		.amdhsa_user_sgpr_private_segment_buffer 1
		.amdhsa_user_sgpr_dispatch_ptr 0
		.amdhsa_user_sgpr_queue_ptr 0
		.amdhsa_user_sgpr_kernarg_segment_ptr 1
		.amdhsa_user_sgpr_dispatch_id 0
		.amdhsa_user_sgpr_flat_scratch_init 0
		.amdhsa_user_sgpr_kernarg_preload_length 0
		.amdhsa_user_sgpr_kernarg_preload_offset 0
		.amdhsa_user_sgpr_private_segment_size 0
		.amdhsa_uses_dynamic_stack 0
		.amdhsa_system_sgpr_private_segment_wavefront_offset 0
		.amdhsa_system_sgpr_workgroup_id_x 1
		.amdhsa_system_sgpr_workgroup_id_y 1
		.amdhsa_system_sgpr_workgroup_id_z 0
		.amdhsa_system_sgpr_workgroup_info 0
		.amdhsa_system_vgpr_workitem_id 0
		.amdhsa_next_free_vgpr 42
		.amdhsa_next_free_sgpr 45
		.amdhsa_accum_offset 44
		.amdhsa_reserve_vcc 1
		.amdhsa_reserve_flat_scratch 0
		.amdhsa_float_round_mode_32 0
		.amdhsa_float_round_mode_16_64 0
		.amdhsa_float_denorm_mode_32 3
		.amdhsa_float_denorm_mode_16_64 3
		.amdhsa_dx10_clamp 1
		.amdhsa_ieee_mode 1
		.amdhsa_fp16_overflow 0
		.amdhsa_tg_split 0
		.amdhsa_exception_fp_ieee_invalid_op 0
		.amdhsa_exception_fp_denorm_src 0
		.amdhsa_exception_fp_ieee_div_zero 0
		.amdhsa_exception_fp_ieee_overflow 0
		.amdhsa_exception_fp_ieee_underflow 0
		.amdhsa_exception_fp_ieee_inexact 0
		.amdhsa_exception_int_div_zero 0
	.end_amdhsa_kernel
	.section	.text._ZN9rocsolver6v33100L22larf_left_kernel_smallILi1024EfiPfEEvT1_S3_T2_lS3_lPKT0_lS4_lS3_l,"axG",@progbits,_ZN9rocsolver6v33100L22larf_left_kernel_smallILi1024EfiPfEEvT1_S3_T2_lS3_lPKT0_lS4_lS3_l,comdat
.Lfunc_end4:
	.size	_ZN9rocsolver6v33100L22larf_left_kernel_smallILi1024EfiPfEEvT1_S3_T2_lS3_lPKT0_lS4_lS3_l, .Lfunc_end4-_ZN9rocsolver6v33100L22larf_left_kernel_smallILi1024EfiPfEEvT1_S3_T2_lS3_lPKT0_lS4_lS3_l
                                        ; -- End function
	.section	.AMDGPU.csdata,"",@progbits
; Kernel info:
; codeLenInByte = 3640
; NumSgprs: 49
; NumVgprs: 42
; NumAgprs: 0
; TotalNumVgprs: 42
; ScratchSize: 0
; MemoryBound: 0
; FloatMode: 240
; IeeeMode: 1
; LDSByteSize: 12288 bytes/workgroup (compile time only)
; SGPRBlocks: 6
; VGPRBlocks: 5
; NumSGPRsForWavesPerEU: 49
; NumVGPRsForWavesPerEU: 42
; AccumOffset: 44
; Occupancy: 8
; WaveLimiterHint : 1
; COMPUTE_PGM_RSRC2:SCRATCH_EN: 0
; COMPUTE_PGM_RSRC2:USER_SGPR: 6
; COMPUTE_PGM_RSRC2:TRAP_HANDLER: 0
; COMPUTE_PGM_RSRC2:TGID_X_EN: 1
; COMPUTE_PGM_RSRC2:TGID_Y_EN: 1
; COMPUTE_PGM_RSRC2:TGID_Z_EN: 0
; COMPUTE_PGM_RSRC2:TIDIG_COMP_CNT: 0
; COMPUTE_PGM_RSRC3_GFX90A:ACCUM_OFFSET: 10
; COMPUTE_PGM_RSRC3_GFX90A:TG_SPLIT: 0
	.section	.text._ZN9rocsolver6v33100L23larf_right_kernel_smallILi64EfiPfEEvT1_S3_T2_lS3_lPKT0_lS4_lS3_l,"axG",@progbits,_ZN9rocsolver6v33100L23larf_right_kernel_smallILi64EfiPfEEvT1_S3_T2_lS3_lPKT0_lS4_lS3_l,comdat
	.globl	_ZN9rocsolver6v33100L23larf_right_kernel_smallILi64EfiPfEEvT1_S3_T2_lS3_lPKT0_lS4_lS3_l ; -- Begin function _ZN9rocsolver6v33100L23larf_right_kernel_smallILi64EfiPfEEvT1_S3_T2_lS3_lPKT0_lS4_lS3_l
	.p2align	8
	.type	_ZN9rocsolver6v33100L23larf_right_kernel_smallILi64EfiPfEEvT1_S3_T2_lS3_lPKT0_lS4_lS3_l,@function
_ZN9rocsolver6v33100L23larf_right_kernel_smallILi64EfiPfEEvT1_S3_T2_lS3_lPKT0_lS4_lS3_l: ; @_ZN9rocsolver6v33100L23larf_right_kernel_smallILi64EfiPfEEvT1_S3_T2_lS3_lPKT0_lS4_lS3_l
; %bb.0:
	s_load_dwordx2 s[18:19], s[4:5], 0x0
	s_load_dwordx8 s[8:15], s[4:5], 0x20
	s_load_dwordx2 s[20:21], s[4:5], 0x40
	s_mov_b32 s16, s7
	s_ashr_i32 s7, s6, 31
	s_waitcnt lgkmcnt(0)
	v_cmp_gt_i32_e64 s[0:1], s19, v0
	s_and_saveexec_b64 s[22:23], s[0:1]
	s_cbranch_execz .LBB5_17
; %bb.1:
	s_load_dwordx4 s[24:27], s[4:5], 0x8
	s_load_dword s28, s[4:5], 0x18
	s_mul_i32 s2, s6, s9
	s_mul_hi_u32 s3, s6, s8
	s_add_i32 s2, s3, s2
	s_mul_i32 s3, s7, s8
	s_add_i32 s3, s2, s3
	s_mul_i32 s2, s6, s8
	s_lshl_b64 s[2:3], s[2:3], 2
	s_waitcnt lgkmcnt(0)
	s_add_u32 s8, s24, s2
	s_addc_u32 s9, s25, s3
	s_lshl_b64 s[2:3], s[26:27], 2
	s_add_u32 s17, s8, s2
	s_addc_u32 s29, s9, s3
	s_sub_i32 s2, 1, s19
	s_mul_i32 s2, s2, s28
	s_cmp_lt_i32 s28, 1
	s_cselect_b32 s30, s2, 0
	v_xad_u32 v2, v0, -1, s19
	s_movk_i32 s2, 0x5bf
	v_cmp_lt_u32_e32 vcc, s2, v2
	s_mov_b64 s[2:3], 0
                                        ; implicit-def: $vgpr1
                                        ; implicit-def: $sgpr31
	s_and_saveexec_b64 s[8:9], vcc
	s_xor_b64 s[24:25], exec, s[8:9]
	s_cbranch_execnz .LBB5_4
; %bb.2:
	s_or_saveexec_b64 s[8:9], s[24:25]
	v_mov_b32_e32 v4, s31
	s_xor_b64 exec, exec, s[8:9]
	s_cbranch_execnz .LBB5_14
.LBB5_3:
	s_or_b64 exec, exec, s[8:9]
	s_and_b64 exec, exec, s[2:3]
	s_cbranch_execnz .LBB5_15
	s_branch .LBB5_17
.LBB5_4:
	s_lshl_b32 s31, s28, 6
	s_sub_i32 s8, 0, s31
	s_cmp_lt_i32 s31, 0
	s_cselect_b64 vcc, -1, 0
	s_and_b64 s[2:3], vcc, exec
	v_lshrrev_b32_e32 v4, 6, v2
	s_cselect_b32 s8, s8, s31
	v_mul_lo_u32 v1, v0, s28
	v_mul_hi_u32 v2, s8, v4
	v_add_u32_e32 v1, s30, v1
	v_cmp_eq_u32_e64 s[2:3], 0, v2
	v_mul_lo_u32 v2, s8, v4
	v_add_u32_e32 v3, v1, v2
	v_sub_u32_e32 v2, v1, v2
	v_cmp_gt_i32_e64 s[8:9], v2, v1
	v_cndmask_b32_e64 v2, 0, 1, s[8:9]
	v_cmp_lt_i32_e64 s[8:9], v3, v1
	v_cndmask_b32_e64 v1, 0, 1, s[8:9]
	v_cndmask_b32_e32 v1, v1, v2, vcc
	v_and_b32_e32 v1, 1, v1
	v_cmp_eq_u32_e32 vcc, 1, v1
	s_xor_b64 s[26:27], vcc, -1
	s_mov_b64 s[8:9], -1
	s_and_b64 s[26:27], s[26:27], s[2:3]
	v_mov_b32_e32 v1, v0
	s_and_saveexec_b64 s[2:3], s[26:27]
	s_cbranch_execz .LBB5_13
; %bb.5:
	v_add_u32_e32 v2, -1, v4
	v_or_b32_e32 v1, 64, v0
	v_lshrrev_b32_e32 v3, 1, v2
	v_add_u32_e32 v5, 1, v3
	v_cmp_lt_u32_e32 vcc, 5, v2
	v_mov_b32_e32 v9, 0
	v_pk_mov_b32 v[2:3], v[0:1], v[0:1] op_sel:[0,1]
	s_and_saveexec_b64 s[8:9], vcc
	s_cbranch_execz .LBB5_9
; %bb.6:
	v_and_b32_e32 v6, -4, v5
	v_lshlrev_b32_e32 v7, 2, v0
	s_mov_b32 s33, 0
	s_mov_b64 s[26:27], 0
	v_mov_b32_e32 v8, s29
	v_pk_mov_b32 v[2:3], v[0:1], v[0:1] op_sel:[0,1]
.LBB5_7:                                ; =>This Inner Loop Header: Depth=1
	v_mul_lo_u32 v9, v2, s28
	v_add_u32_e32 v11, 0x80, v2
	v_add_u32_e32 v10, s30, v9
	v_mul_lo_u32 v1, v3, s28
	v_mul_lo_u32 v9, v11, s28
	v_ashrrev_i32_e32 v11, 31, v10
	v_add_u32_e32 v13, 0x80, v3
	v_add_u32_e32 v12, s30, v1
	v_lshlrev_b64 v[10:11], 2, v[10:11]
	v_add_u32_e32 v14, 0x100, v2
	v_add_u32_e32 v15, 0x100, v3
	v_mul_lo_u32 v1, v13, s28
	v_ashrrev_i32_e32 v13, 31, v12
	v_add_co_u32_e32 v10, vcc, s17, v10
	v_mul_lo_u32 v15, v15, s28
	v_mul_lo_u32 v18, v14, s28
	v_add_u32_e32 v14, s30, v9
	v_lshlrev_b64 v[12:13], 2, v[12:13]
	v_addc_co_u32_e32 v11, vcc, v8, v11, vcc
	v_add_u32_e32 v16, 0x180, v2
	v_add_u32_e32 v17, 0x180, v3
	;; [unrolled: 1-line block ×3, first 2 shown]
	v_ashrrev_i32_e32 v15, 31, v14
	v_add_co_u32_e32 v12, vcc, s17, v12
	v_mul_lo_u32 v17, v17, s28
	v_mul_lo_u32 v19, v16, s28
	v_add_u32_e32 v16, s30, v1
	v_addc_co_u32_e32 v13, vcc, v8, v13, vcc
	v_lshlrev_b64 v[14:15], 2, v[14:15]
	v_add_u32_e32 v24, s30, v17
	v_ashrrev_i32_e32 v17, 31, v16
	v_add_co_u32_e32 v14, vcc, s17, v14
	v_add_u32_e32 v18, s30, v18
	v_lshlrev_b64 v[16:17], 2, v[16:17]
	v_addc_co_u32_e32 v15, vcc, v8, v15, vcc
	v_add_u32_e32 v22, s30, v19
	v_ashrrev_i32_e32 v19, 31, v18
	v_add_co_u32_e32 v16, vcc, s17, v16
	v_lshlrev_b64 v[18:19], 2, v[18:19]
	v_addc_co_u32_e32 v17, vcc, v8, v17, vcc
	v_ashrrev_i32_e32 v21, 31, v20
	v_add_co_u32_e32 v18, vcc, s17, v18
	v_lshlrev_b64 v[20:21], 2, v[20:21]
	v_addc_co_u32_e32 v19, vcc, v8, v19, vcc
	;; [unrolled: 4-line block ×4, first 2 shown]
	v_add_co_u32_e32 v24, vcc, s17, v24
	v_addc_co_u32_e32 v25, vcc, v8, v25, vcc
	global_load_dword v1, v[10:11], off
	global_load_dword v26, v[12:13], off
	global_load_dword v27, v[14:15], off
	global_load_dword v28, v[16:17], off
	global_load_dword v29, v[18:19], off
	global_load_dword v30, v[20:21], off
	global_load_dword v31, v[22:23], off
	global_load_dword v32, v[24:25], off
	v_add_u32_e32 v6, -4, v6
	s_add_i32 s33, s33, 8
	v_cmp_eq_u32_e32 vcc, 0, v6
	v_add_u32_e32 v3, 0x200, v3
	v_add_u32_e32 v2, 0x200, v2
	v_mov_b32_e32 v9, s33
	s_or_b64 s[26:27], vcc, s[26:27]
	s_waitcnt vmcnt(6)
	ds_write2st64_b32 v7, v1, v26 offset1:1
	s_waitcnt vmcnt(4)
	ds_write2st64_b32 v7, v27, v28 offset0:2 offset1:3
	s_waitcnt vmcnt(2)
	ds_write2st64_b32 v7, v29, v30 offset0:4 offset1:5
	;; [unrolled: 2-line block ×3, first 2 shown]
	v_add_u32_e32 v7, 0x800, v7
	s_andn2_b64 exec, exec, s[26:27]
	s_cbranch_execnz .LBB5_7
; %bb.8:
	s_or_b64 exec, exec, s[26:27]
.LBB5_9:
	s_or_b64 exec, exec, s[8:9]
	v_and_b32_e32 v1, 3, v5
	v_cmp_ne_u32_e32 vcc, 0, v1
	s_and_saveexec_b64 s[8:9], vcc
	s_cbranch_execz .LBB5_12
; %bb.10:
	v_lshlrev_b32_e32 v5, 2, v0
	v_lshl_or_b32 v5, v9, 8, v5
	s_mov_b64 s[26:27], 0
	v_mov_b32_e32 v6, s29
.LBB5_11:                               ; =>This Inner Loop Header: Depth=1
	v_mul_lo_u32 v8, v2, s28
	v_add_u32_e32 v8, s30, v8
	v_mul_lo_u32 v7, v3, s28
	v_ashrrev_i32_e32 v9, 31, v8
	v_add_u32_e32 v10, s30, v7
	v_lshlrev_b64 v[8:9], 2, v[8:9]
	v_ashrrev_i32_e32 v11, 31, v10
	v_add_co_u32_e32 v8, vcc, s17, v8
	v_lshlrev_b64 v[10:11], 2, v[10:11]
	v_addc_co_u32_e32 v9, vcc, v6, v9, vcc
	v_add_co_u32_e32 v10, vcc, s17, v10
	v_addc_co_u32_e32 v11, vcc, v6, v11, vcc
	global_load_dword v7, v[8:9], off
	global_load_dword v12, v[10:11], off
	v_add_u32_e32 v1, -1, v1
	v_cmp_eq_u32_e32 vcc, 0, v1
	v_add_u32_e32 v3, 0x80, v3
	v_add_u32_e32 v2, 0x80, v2
	s_or_b64 s[26:27], vcc, s[26:27]
	s_waitcnt vmcnt(0)
	ds_write2st64_b32 v5, v7, v12 offset1:1
	v_add_u32_e32 v5, 0x200, v5
	s_andn2_b64 exec, exec, s[26:27]
	s_cbranch_execnz .LBB5_11
.LBB5_12:
	s_or_b64 exec, exec, s[8:9]
	v_add_u32_e32 v2, 1, v4
	v_and_b32_e32 v3, 0x7fffffe, v2
	v_cmp_ne_u32_e32 vcc, v2, v3
	v_lshl_or_b32 v1, v3, 6, v0
	s_orn2_b64 s[8:9], vcc, exec
.LBB5_13:
	s_or_b64 exec, exec, s[2:3]
	s_and_b64 s[2:3], s[8:9], exec
	s_or_saveexec_b64 s[8:9], s[24:25]
	v_mov_b32_e32 v4, s31
	s_xor_b64 exec, exec, s[8:9]
	s_cbranch_execz .LBB5_3
.LBB5_14:
	s_lshl_b32 s24, s28, 6
	v_mov_b32_e32 v4, s24
	s_or_b64 s[2:3], s[2:3], exec
	v_mov_b32_e32 v1, v0
	s_or_b64 exec, exec, s[8:9]
	s_and_b64 exec, exec, s[2:3]
	s_cbranch_execz .LBB5_17
.LBB5_15:
	v_mul_lo_u32 v2, v1, s28
	v_add_u32_e32 v2, s30, v2
	v_lshlrev_b32_e32 v5, 2, v1
	s_mov_b64 s[2:3], 0
	v_mov_b32_e32 v6, s29
.LBB5_16:                               ; =>This Inner Loop Header: Depth=1
	v_ashrrev_i32_e32 v3, 31, v2
	v_lshlrev_b64 v[8:9], 2, v[2:3]
	v_add_co_u32_e32 v8, vcc, s17, v8
	v_addc_co_u32_e32 v9, vcc, v6, v9, vcc
	global_load_dword v3, v[8:9], off
	v_add_u32_e32 v1, 64, v1
	v_cmp_le_i32_e32 vcc, s19, v1
	v_add_u32_e32 v2, v2, v4
	s_or_b64 s[2:3], vcc, s[2:3]
	s_waitcnt vmcnt(0)
	ds_write_b32 v5, v3
	v_add_u32_e32 v5, 0x100, v5
	s_andn2_b64 exec, exec, s[2:3]
	s_cbranch_execnz .LBB5_16
.LBB5_17:
	s_or_b64 exec, exec, s[22:23]
	s_cmp_ge_i32 s16, s18
	s_waitcnt lgkmcnt(0)
	; wave barrier
	s_waitcnt lgkmcnt(0)
	s_cbranch_scc1 .LBB5_35
; %bb.18:
	s_load_dwordx2 s[2:3], s[4:5], 0x50
	s_load_dword s8, s[4:5], 0x48
	v_mbcnt_lo_u32_b32 v2, -1, 0
	v_mbcnt_hi_u32_b32 v7, -1, v2
	v_lshrrev_b32_e32 v1, 4, v0
	s_waitcnt lgkmcnt(0)
	s_mul_i32 s3, s6, s3
	s_mul_hi_u32 s4, s6, s2
	s_mul_i32 s5, s7, s2
	s_add_i32 s3, s4, s3
	s_mul_i32 s2, s6, s2
	s_add_i32 s3, s3, s5
	s_lshl_b64 s[2:3], s[2:3], 2
	s_add_u32 s4, s14, s2
	s_addc_u32 s5, s15, s3
	s_lshl_b64 s[2:3], s[20:21], 2
	s_add_u32 s14, s4, s2
	s_addc_u32 s15, s5, s3
	s_mul_i32 s2, s6, s13
	s_mul_hi_u32 s3, s6, s12
	s_add_i32 s2, s3, s2
	s_mul_i32 s3, s7, s12
	s_add_i32 s3, s2, s3
	s_mul_i32 s2, s6, s12
	s_lshl_b64 s[2:3], s[2:3], 2
	s_add_u32 s2, s10, s2
	s_addc_u32 s3, s11, s3
	s_cmp_gt_i32 s19, 1
	s_cselect_b64 s[4:5], -1, 0
	v_cmp_eq_u32_e64 s[6:7], 0, v0
	v_lshlrev_b32_e32 v4, 2, v0
	v_mul_lo_u32 v5, v0, s8
	s_lshl_b32 s12, s8, 6
	v_mov_b32_e32 v6, 0
	v_and_b32_e32 v8, 63, v7
	s_branch .LBB5_20
.LBB5_19:                               ;   in Loop: Header=BB5_20 Depth=1
	s_or_b64 exec, exec, s[8:9]
	s_add_i32 s16, s16, 64
	s_cmp_ge_i32 s16, s18
	s_cbranch_scc1 .LBB5_35
.LBB5_20:                               ; =>This Loop Header: Depth=1
                                        ;     Child Loop BB5_22 Depth 2
                                        ;     Child Loop BB5_34 Depth 2
	s_ashr_i32 s17, s16, 31
	s_lshl_b64 s[8:9], s[16:17], 2
	s_add_u32 s13, s14, s8
	s_addc_u32 s17, s15, s9
	v_mov_b32_e32 v9, 0
	s_and_saveexec_b64 s[8:9], s[0:1]
	s_cbranch_execz .LBB5_24
; %bb.21:                               ;   in Loop: Header=BB5_20 Depth=1
	s_mov_b64 s[10:11], 0
	v_mov_b32_e32 v9, 0
	v_mov_b32_e32 v10, s17
	;; [unrolled: 1-line block ×5, first 2 shown]
.LBB5_22:                               ;   Parent Loop BB5_20 Depth=1
                                        ; =>  This Inner Loop Header: Depth=2
	v_ashrrev_i32_e32 v3, 31, v2
	v_lshlrev_b64 v[14:15], 2, v[2:3]
	v_add_co_u32_e32 v14, vcc, s13, v14
	v_addc_co_u32_e32 v15, vcc, v10, v15, vcc
	global_load_dword v3, v[14:15], off
	ds_read_b32 v13, v11
	v_add_u32_e32 v12, 64, v12
	v_cmp_le_i32_e32 vcc, s19, v12
	v_add_u32_e32 v11, 0x100, v11
	v_add_u32_e32 v2, s12, v2
	s_or_b64 s[10:11], vcc, s[10:11]
	s_waitcnt vmcnt(0) lgkmcnt(0)
	v_mul_f32_e32 v3, v13, v3
	v_add_f32_e32 v9, v9, v3
	s_andn2_b64 exec, exec, s[10:11]
	s_cbranch_execnz .LBB5_22
; %bb.23:                               ;   in Loop: Header=BB5_20 Depth=1
	s_or_b64 exec, exec, s[10:11]
.LBB5_24:                               ;   in Loop: Header=BB5_20 Depth=1
	s_or_b64 exec, exec, s[8:9]
	s_and_b64 vcc, exec, s[4:5]
	s_cbranch_vccz .LBB5_29
; %bb.25:                               ;   in Loop: Header=BB5_20 Depth=1
	v_cmp_ne_u32_e32 vcc, 63, v8
	v_addc_co_u32_e32 v2, vcc, 0, v7, vcc
	v_lshlrev_b32_e32 v2, 2, v2
	ds_bpermute_b32 v2, v2, v9
	v_cmp_gt_u32_e32 vcc, 62, v8
	v_cndmask_b32_e64 v3, 0, 1, vcc
	v_lshlrev_b32_e32 v3, 1, v3
	v_add_lshl_u32 v3, v3, v7, 2
	s_waitcnt lgkmcnt(0)
	v_add_f32_e32 v2, v9, v2
	ds_bpermute_b32 v3, v3, v2
	v_cmp_gt_u32_e32 vcc, 60, v8
	v_cndmask_b32_e64 v10, 0, 1, vcc
	v_cmp_gt_u32_e32 vcc, 56, v8
	s_waitcnt lgkmcnt(0)
	v_add_f32_e32 v2, v2, v3
	v_lshlrev_b32_e32 v3, 2, v10
	v_add_lshl_u32 v3, v3, v7, 2
	ds_bpermute_b32 v3, v3, v2
	v_cndmask_b32_e64 v10, 0, 1, vcc
	v_cmp_gt_u32_e32 vcc, 48, v8
	s_waitcnt lgkmcnt(0)
	v_add_f32_e32 v2, v2, v3
	v_lshlrev_b32_e32 v3, 3, v10
	v_add_lshl_u32 v3, v3, v7, 2
	ds_bpermute_b32 v3, v3, v2
	v_cndmask_b32_e64 v10, 0, 1, vcc
	v_cmp_gt_u32_e32 vcc, 32, v8
	s_waitcnt lgkmcnt(0)
	v_add_f32_e32 v2, v2, v3
	v_lshlrev_b32_e32 v3, 4, v10
	v_add_lshl_u32 v3, v3, v7, 2
	ds_bpermute_b32 v3, v3, v2
	v_cndmask_b32_e64 v10, 0, 1, vcc
	s_waitcnt lgkmcnt(0)
	v_add_f32_e32 v2, v2, v3
	v_lshlrev_b32_e32 v3, 5, v10
	v_add_lshl_u32 v3, v3, v7, 2
	ds_bpermute_b32 v3, v3, v2
	s_waitcnt lgkmcnt(0)
	v_add_f32_e32 v2, v2, v3
	s_and_saveexec_b64 s[8:9], s[6:7]
	s_cbranch_execz .LBB5_27
; %bb.26:                               ;   in Loop: Header=BB5_20 Depth=1
	ds_write_b32 v1, v2 offset:8192
.LBB5_27:                               ;   in Loop: Header=BB5_20 Depth=1
	s_or_b64 exec, exec, s[8:9]
	s_waitcnt lgkmcnt(0)
	; wave barrier
	s_waitcnt lgkmcnt(0)
	s_mov_b64 s[8:9], s[6:7]
.LBB5_28:                               ;   in Loop: Header=BB5_20 Depth=1
	v_mov_b32_e32 v9, v2
	s_and_saveexec_b64 s[10:11], s[8:9]
	s_cbranch_execnz .LBB5_31
	s_branch .LBB5_32
.LBB5_29:                               ;   in Loop: Header=BB5_20 Depth=1
	s_mov_b64 s[8:9], 0
                                        ; implicit-def: $vgpr2
	s_cbranch_execz .LBB5_28
; %bb.30:                               ;   in Loop: Header=BB5_20 Depth=1
	s_andn2_b64 s[8:9], s[8:9], exec
	s_and_b64 s[10:11], s[6:7], exec
	s_or_b64 s[8:9], s[8:9], s[10:11]
	s_and_saveexec_b64 s[10:11], s[8:9]
	s_cbranch_execz .LBB5_32
.LBB5_31:                               ;   in Loop: Header=BB5_20 Depth=1
	ds_write_b32 v6, v9 offset:8192
.LBB5_32:                               ;   in Loop: Header=BB5_20 Depth=1
	s_or_b64 exec, exec, s[10:11]
	s_waitcnt lgkmcnt(0)
	; wave barrier
	s_waitcnt lgkmcnt(0)
	s_and_saveexec_b64 s[8:9], s[0:1]
	s_cbranch_execz .LBB5_19
; %bb.33:                               ;   in Loop: Header=BB5_20 Depth=1
	global_load_dword v3, v6, s[2:3]
	ds_read_b32 v11, v6 offset:8192
	s_mov_b64 s[10:11], 0
	v_mov_b32_e32 v9, s17
	v_mov_b32_e32 v10, v4
	;; [unrolled: 1-line block ×4, first 2 shown]
	s_waitcnt vmcnt(0) lgkmcnt(0)
	v_mul_f32_e64 v11, v11, -v3
.LBB5_34:                               ;   Parent Loop BB5_20 Depth=1
                                        ; =>  This Inner Loop Header: Depth=2
	v_ashrrev_i32_e32 v3, 31, v2
	v_lshlrev_b64 v[14:15], 2, v[2:3]
	v_add_co_u32_e32 v14, vcc, s13, v14
	v_addc_co_u32_e32 v15, vcc, v9, v15, vcc
	global_load_dword v3, v[14:15], off
	ds_read_b32 v13, v10
	v_add_u32_e32 v12, 64, v12
	v_cmp_le_i32_e32 vcc, s19, v12
	v_add_u32_e32 v10, 0x100, v10
	v_add_u32_e32 v2, s12, v2
	s_or_b64 s[10:11], vcc, s[10:11]
	s_waitcnt vmcnt(0) lgkmcnt(0)
	v_fmac_f32_e32 v3, v11, v13
	global_store_dword v[14:15], v3, off
	s_andn2_b64 exec, exec, s[10:11]
	s_cbranch_execnz .LBB5_34
	s_branch .LBB5_19
.LBB5_35:
	s_endpgm
	.section	.rodata,"a",@progbits
	.p2align	6, 0x0
	.amdhsa_kernel _ZN9rocsolver6v33100L23larf_right_kernel_smallILi64EfiPfEEvT1_S3_T2_lS3_lPKT0_lS4_lS3_l
		.amdhsa_group_segment_fixed_size 8196
		.amdhsa_private_segment_fixed_size 0
		.amdhsa_kernarg_size 88
		.amdhsa_user_sgpr_count 6
		.amdhsa_user_sgpr_private_segment_buffer 1
		.amdhsa_user_sgpr_dispatch_ptr 0
		.amdhsa_user_sgpr_queue_ptr 0
		.amdhsa_user_sgpr_kernarg_segment_ptr 1
		.amdhsa_user_sgpr_dispatch_id 0
		.amdhsa_user_sgpr_flat_scratch_init 0
		.amdhsa_user_sgpr_kernarg_preload_length 0
		.amdhsa_user_sgpr_kernarg_preload_offset 0
		.amdhsa_user_sgpr_private_segment_size 0
		.amdhsa_uses_dynamic_stack 0
		.amdhsa_system_sgpr_private_segment_wavefront_offset 0
		.amdhsa_system_sgpr_workgroup_id_x 1
		.amdhsa_system_sgpr_workgroup_id_y 1
		.amdhsa_system_sgpr_workgroup_id_z 0
		.amdhsa_system_sgpr_workgroup_info 0
		.amdhsa_system_vgpr_workitem_id 0
		.amdhsa_next_free_vgpr 33
		.amdhsa_next_free_sgpr 34
		.amdhsa_accum_offset 36
		.amdhsa_reserve_vcc 1
		.amdhsa_reserve_flat_scratch 0
		.amdhsa_float_round_mode_32 0
		.amdhsa_float_round_mode_16_64 0
		.amdhsa_float_denorm_mode_32 3
		.amdhsa_float_denorm_mode_16_64 3
		.amdhsa_dx10_clamp 1
		.amdhsa_ieee_mode 1
		.amdhsa_fp16_overflow 0
		.amdhsa_tg_split 0
		.amdhsa_exception_fp_ieee_invalid_op 0
		.amdhsa_exception_fp_denorm_src 0
		.amdhsa_exception_fp_ieee_div_zero 0
		.amdhsa_exception_fp_ieee_overflow 0
		.amdhsa_exception_fp_ieee_underflow 0
		.amdhsa_exception_fp_ieee_inexact 0
		.amdhsa_exception_int_div_zero 0
	.end_amdhsa_kernel
	.section	.text._ZN9rocsolver6v33100L23larf_right_kernel_smallILi64EfiPfEEvT1_S3_T2_lS3_lPKT0_lS4_lS3_l,"axG",@progbits,_ZN9rocsolver6v33100L23larf_right_kernel_smallILi64EfiPfEEvT1_S3_T2_lS3_lPKT0_lS4_lS3_l,comdat
.Lfunc_end5:
	.size	_ZN9rocsolver6v33100L23larf_right_kernel_smallILi64EfiPfEEvT1_S3_T2_lS3_lPKT0_lS4_lS3_l, .Lfunc_end5-_ZN9rocsolver6v33100L23larf_right_kernel_smallILi64EfiPfEEvT1_S3_T2_lS3_lPKT0_lS4_lS3_l
                                        ; -- End function
	.section	.AMDGPU.csdata,"",@progbits
; Kernel info:
; codeLenInByte = 2060
; NumSgprs: 38
; NumVgprs: 33
; NumAgprs: 0
; TotalNumVgprs: 33
; ScratchSize: 0
; MemoryBound: 0
; FloatMode: 240
; IeeeMode: 1
; LDSByteSize: 8196 bytes/workgroup (compile time only)
; SGPRBlocks: 4
; VGPRBlocks: 4
; NumSGPRsForWavesPerEU: 38
; NumVGPRsForWavesPerEU: 33
; AccumOffset: 36
; Occupancy: 2
; WaveLimiterHint : 0
; COMPUTE_PGM_RSRC2:SCRATCH_EN: 0
; COMPUTE_PGM_RSRC2:USER_SGPR: 6
; COMPUTE_PGM_RSRC2:TRAP_HANDLER: 0
; COMPUTE_PGM_RSRC2:TGID_X_EN: 1
; COMPUTE_PGM_RSRC2:TGID_Y_EN: 1
; COMPUTE_PGM_RSRC2:TGID_Z_EN: 0
; COMPUTE_PGM_RSRC2:TIDIG_COMP_CNT: 0
; COMPUTE_PGM_RSRC3_GFX90A:ACCUM_OFFSET: 8
; COMPUTE_PGM_RSRC3_GFX90A:TG_SPLIT: 0
	.section	.text._ZN9rocsolver6v33100L23larf_right_kernel_smallILi128EfiPfEEvT1_S3_T2_lS3_lPKT0_lS4_lS3_l,"axG",@progbits,_ZN9rocsolver6v33100L23larf_right_kernel_smallILi128EfiPfEEvT1_S3_T2_lS3_lPKT0_lS4_lS3_l,comdat
	.globl	_ZN9rocsolver6v33100L23larf_right_kernel_smallILi128EfiPfEEvT1_S3_T2_lS3_lPKT0_lS4_lS3_l ; -- Begin function _ZN9rocsolver6v33100L23larf_right_kernel_smallILi128EfiPfEEvT1_S3_T2_lS3_lPKT0_lS4_lS3_l
	.p2align	8
	.type	_ZN9rocsolver6v33100L23larf_right_kernel_smallILi128EfiPfEEvT1_S3_T2_lS3_lPKT0_lS4_lS3_l,@function
_ZN9rocsolver6v33100L23larf_right_kernel_smallILi128EfiPfEEvT1_S3_T2_lS3_lPKT0_lS4_lS3_l: ; @_ZN9rocsolver6v33100L23larf_right_kernel_smallILi128EfiPfEEvT1_S3_T2_lS3_lPKT0_lS4_lS3_l
; %bb.0:
	s_load_dwordx2 s[18:19], s[4:5], 0x0
	s_load_dwordx8 s[8:15], s[4:5], 0x20
	s_load_dwordx2 s[20:21], s[4:5], 0x40
	s_mov_b32 s16, s7
	s_ashr_i32 s7, s6, 31
	s_waitcnt lgkmcnt(0)
	v_cmp_gt_i32_e64 s[0:1], s19, v0
	s_and_saveexec_b64 s[22:23], s[0:1]
	s_cbranch_execz .LBB6_17
; %bb.1:
	s_load_dwordx4 s[24:27], s[4:5], 0x8
	s_load_dword s28, s[4:5], 0x18
	s_mul_i32 s2, s6, s9
	s_mul_hi_u32 s3, s6, s8
	s_add_i32 s2, s3, s2
	s_mul_i32 s3, s7, s8
	s_add_i32 s3, s2, s3
	s_mul_i32 s2, s6, s8
	s_lshl_b64 s[2:3], s[2:3], 2
	s_waitcnt lgkmcnt(0)
	s_add_u32 s8, s24, s2
	s_addc_u32 s9, s25, s3
	s_lshl_b64 s[2:3], s[26:27], 2
	s_add_u32 s17, s8, s2
	s_addc_u32 s29, s9, s3
	s_sub_i32 s2, 1, s19
	s_mul_i32 s2, s2, s28
	s_cmp_lt_i32 s28, 1
	s_cselect_b32 s30, s2, 0
	v_xad_u32 v2, v0, -1, s19
	s_movk_i32 s2, 0xb7f
	v_cmp_lt_u32_e32 vcc, s2, v2
	s_mov_b64 s[2:3], 0
                                        ; implicit-def: $vgpr1
                                        ; implicit-def: $sgpr31
	s_and_saveexec_b64 s[8:9], vcc
	s_xor_b64 s[24:25], exec, s[8:9]
	s_cbranch_execnz .LBB6_4
; %bb.2:
	s_or_saveexec_b64 s[8:9], s[24:25]
	v_mov_b32_e32 v4, s31
	s_xor_b64 exec, exec, s[8:9]
	s_cbranch_execnz .LBB6_14
.LBB6_3:
	s_or_b64 exec, exec, s[8:9]
	s_and_b64 exec, exec, s[2:3]
	s_cbranch_execnz .LBB6_15
	s_branch .LBB6_17
.LBB6_4:
	s_lshl_b32 s31, s28, 7
	s_sub_i32 s8, 0, s31
	s_cmp_lt_i32 s31, 0
	s_cselect_b64 vcc, -1, 0
	s_and_b64 s[2:3], vcc, exec
	v_lshrrev_b32_e32 v4, 7, v2
	s_cselect_b32 s8, s8, s31
	v_mul_lo_u32 v1, v0, s28
	v_mul_hi_u32 v2, s8, v4
	v_add_u32_e32 v1, s30, v1
	v_cmp_eq_u32_e64 s[2:3], 0, v2
	v_mul_lo_u32 v2, s8, v4
	v_add_u32_e32 v3, v1, v2
	v_sub_u32_e32 v2, v1, v2
	v_cmp_gt_i32_e64 s[8:9], v2, v1
	v_cndmask_b32_e64 v2, 0, 1, s[8:9]
	v_cmp_lt_i32_e64 s[8:9], v3, v1
	v_cndmask_b32_e64 v1, 0, 1, s[8:9]
	v_cndmask_b32_e32 v1, v1, v2, vcc
	v_and_b32_e32 v1, 1, v1
	v_cmp_eq_u32_e32 vcc, 1, v1
	s_xor_b64 s[26:27], vcc, -1
	s_mov_b64 s[8:9], -1
	s_and_b64 s[26:27], s[26:27], s[2:3]
	v_mov_b32_e32 v1, v0
	s_and_saveexec_b64 s[2:3], s[26:27]
	s_cbranch_execz .LBB6_13
; %bb.5:
	v_add_u32_e32 v2, -1, v4
	v_or_b32_e32 v1, 0x80, v0
	v_lshrrev_b32_e32 v3, 1, v2
	v_add_u32_e32 v5, 1, v3
	v_cmp_lt_u32_e32 vcc, 5, v2
	v_mov_b32_e32 v9, 0
	v_pk_mov_b32 v[2:3], v[0:1], v[0:1] op_sel:[0,1]
	s_and_saveexec_b64 s[8:9], vcc
	s_cbranch_execz .LBB6_9
; %bb.6:
	v_and_b32_e32 v6, -4, v5
	v_lshlrev_b32_e32 v7, 2, v0
	s_mov_b32 s33, 0
	s_mov_b64 s[26:27], 0
	v_mov_b32_e32 v8, s29
	v_pk_mov_b32 v[2:3], v[0:1], v[0:1] op_sel:[0,1]
.LBB6_7:                                ; =>This Inner Loop Header: Depth=1
	v_mul_lo_u32 v9, v2, s28
	v_add_u32_e32 v11, 0x100, v2
	v_add_u32_e32 v10, s30, v9
	v_mul_lo_u32 v1, v3, s28
	v_mul_lo_u32 v9, v11, s28
	v_ashrrev_i32_e32 v11, 31, v10
	v_add_u32_e32 v13, 0x100, v3
	v_add_u32_e32 v12, s30, v1
	v_lshlrev_b64 v[10:11], 2, v[10:11]
	v_add_u32_e32 v14, 0x200, v2
	v_add_u32_e32 v15, 0x200, v3
	v_mul_lo_u32 v1, v13, s28
	v_ashrrev_i32_e32 v13, 31, v12
	v_add_co_u32_e32 v10, vcc, s17, v10
	v_mul_lo_u32 v15, v15, s28
	v_mul_lo_u32 v18, v14, s28
	v_add_u32_e32 v14, s30, v9
	v_lshlrev_b64 v[12:13], 2, v[12:13]
	v_addc_co_u32_e32 v11, vcc, v8, v11, vcc
	v_add_u32_e32 v16, 0x300, v2
	v_add_u32_e32 v17, 0x300, v3
	;; [unrolled: 1-line block ×3, first 2 shown]
	v_ashrrev_i32_e32 v15, 31, v14
	v_add_co_u32_e32 v12, vcc, s17, v12
	v_mul_lo_u32 v17, v17, s28
	v_mul_lo_u32 v19, v16, s28
	v_add_u32_e32 v16, s30, v1
	v_addc_co_u32_e32 v13, vcc, v8, v13, vcc
	v_lshlrev_b64 v[14:15], 2, v[14:15]
	v_add_u32_e32 v24, s30, v17
	v_ashrrev_i32_e32 v17, 31, v16
	v_add_co_u32_e32 v14, vcc, s17, v14
	v_add_u32_e32 v18, s30, v18
	v_lshlrev_b64 v[16:17], 2, v[16:17]
	v_addc_co_u32_e32 v15, vcc, v8, v15, vcc
	v_add_u32_e32 v22, s30, v19
	v_ashrrev_i32_e32 v19, 31, v18
	v_add_co_u32_e32 v16, vcc, s17, v16
	v_lshlrev_b64 v[18:19], 2, v[18:19]
	v_addc_co_u32_e32 v17, vcc, v8, v17, vcc
	v_ashrrev_i32_e32 v21, 31, v20
	v_add_co_u32_e32 v18, vcc, s17, v18
	v_lshlrev_b64 v[20:21], 2, v[20:21]
	v_addc_co_u32_e32 v19, vcc, v8, v19, vcc
	;; [unrolled: 4-line block ×4, first 2 shown]
	v_add_co_u32_e32 v24, vcc, s17, v24
	v_addc_co_u32_e32 v25, vcc, v8, v25, vcc
	global_load_dword v1, v[10:11], off
	global_load_dword v26, v[12:13], off
	global_load_dword v27, v[14:15], off
	global_load_dword v28, v[16:17], off
	global_load_dword v29, v[18:19], off
	global_load_dword v30, v[20:21], off
	global_load_dword v31, v[22:23], off
	global_load_dword v32, v[24:25], off
	v_add_u32_e32 v6, -4, v6
	s_add_i32 s33, s33, 8
	v_cmp_eq_u32_e32 vcc, 0, v6
	v_add_u32_e32 v3, 0x400, v3
	v_add_u32_e32 v2, 0x400, v2
	v_mov_b32_e32 v9, s33
	s_or_b64 s[26:27], vcc, s[26:27]
	s_waitcnt vmcnt(6)
	ds_write2st64_b32 v7, v1, v26 offset1:2
	s_waitcnt vmcnt(4)
	ds_write2st64_b32 v7, v27, v28 offset0:4 offset1:6
	s_waitcnt vmcnt(2)
	ds_write2st64_b32 v7, v29, v30 offset0:8 offset1:10
	;; [unrolled: 2-line block ×3, first 2 shown]
	v_add_u32_e32 v7, 0x1000, v7
	s_andn2_b64 exec, exec, s[26:27]
	s_cbranch_execnz .LBB6_7
; %bb.8:
	s_or_b64 exec, exec, s[26:27]
.LBB6_9:
	s_or_b64 exec, exec, s[8:9]
	v_and_b32_e32 v1, 3, v5
	v_cmp_ne_u32_e32 vcc, 0, v1
	s_and_saveexec_b64 s[8:9], vcc
	s_cbranch_execz .LBB6_12
; %bb.10:
	v_lshlrev_b32_e32 v5, 2, v0
	v_lshl_or_b32 v5, v9, 9, v5
	s_mov_b64 s[26:27], 0
	v_mov_b32_e32 v6, s29
.LBB6_11:                               ; =>This Inner Loop Header: Depth=1
	v_mul_lo_u32 v8, v2, s28
	v_add_u32_e32 v8, s30, v8
	v_mul_lo_u32 v7, v3, s28
	v_ashrrev_i32_e32 v9, 31, v8
	v_add_u32_e32 v10, s30, v7
	v_lshlrev_b64 v[8:9], 2, v[8:9]
	v_ashrrev_i32_e32 v11, 31, v10
	v_add_co_u32_e32 v8, vcc, s17, v8
	v_lshlrev_b64 v[10:11], 2, v[10:11]
	v_addc_co_u32_e32 v9, vcc, v6, v9, vcc
	v_add_co_u32_e32 v10, vcc, s17, v10
	v_addc_co_u32_e32 v11, vcc, v6, v11, vcc
	global_load_dword v7, v[8:9], off
	global_load_dword v12, v[10:11], off
	v_add_u32_e32 v1, -1, v1
	v_cmp_eq_u32_e32 vcc, 0, v1
	v_add_u32_e32 v3, 0x100, v3
	v_add_u32_e32 v2, 0x100, v2
	s_or_b64 s[26:27], vcc, s[26:27]
	s_waitcnt vmcnt(0)
	ds_write2st64_b32 v5, v7, v12 offset1:2
	v_add_u32_e32 v5, 0x400, v5
	s_andn2_b64 exec, exec, s[26:27]
	s_cbranch_execnz .LBB6_11
.LBB6_12:
	s_or_b64 exec, exec, s[8:9]
	v_add_u32_e32 v2, 1, v4
	v_and_b32_e32 v3, 0x3fffffe, v2
	v_cmp_ne_u32_e32 vcc, v2, v3
	v_lshl_or_b32 v1, v3, 7, v0
	s_orn2_b64 s[8:9], vcc, exec
.LBB6_13:
	s_or_b64 exec, exec, s[2:3]
	s_and_b64 s[2:3], s[8:9], exec
	s_or_saveexec_b64 s[8:9], s[24:25]
	v_mov_b32_e32 v4, s31
	s_xor_b64 exec, exec, s[8:9]
	s_cbranch_execz .LBB6_3
.LBB6_14:
	s_lshl_b32 s24, s28, 7
	v_mov_b32_e32 v4, s24
	s_or_b64 s[2:3], s[2:3], exec
	v_mov_b32_e32 v1, v0
	s_or_b64 exec, exec, s[8:9]
	s_and_b64 exec, exec, s[2:3]
	s_cbranch_execz .LBB6_17
.LBB6_15:
	v_mul_lo_u32 v2, v1, s28
	v_add_u32_e32 v2, s30, v2
	v_lshlrev_b32_e32 v5, 2, v1
	s_mov_b64 s[2:3], 0
	v_mov_b32_e32 v6, s29
.LBB6_16:                               ; =>This Inner Loop Header: Depth=1
	v_ashrrev_i32_e32 v3, 31, v2
	v_lshlrev_b64 v[8:9], 2, v[2:3]
	v_add_co_u32_e32 v8, vcc, s17, v8
	v_addc_co_u32_e32 v9, vcc, v6, v9, vcc
	global_load_dword v3, v[8:9], off
	v_add_u32_e32 v1, 0x80, v1
	v_cmp_le_i32_e32 vcc, s19, v1
	v_add_u32_e32 v2, v2, v4
	s_or_b64 s[2:3], vcc, s[2:3]
	s_waitcnt vmcnt(0)
	ds_write_b32 v5, v3
	v_add_u32_e32 v5, 0x200, v5
	s_andn2_b64 exec, exec, s[2:3]
	s_cbranch_execnz .LBB6_16
.LBB6_17:
	s_or_b64 exec, exec, s[22:23]
	s_cmp_ge_i32 s16, s18
	s_waitcnt lgkmcnt(0)
	s_barrier
	s_cbranch_scc1 .LBB6_37
; %bb.18:
	s_load_dwordx2 s[2:3], s[4:5], 0x50
	s_load_dword s17, s[4:5], 0x48
	v_mbcnt_lo_u32_b32 v2, -1, 0
	v_and_b32_e32 v1, 63, v0
	v_mbcnt_hi_u32_b32 v7, -1, v2
	s_waitcnt lgkmcnt(0)
	s_mul_i32 s3, s6, s3
	s_mul_hi_u32 s4, s6, s2
	s_mul_i32 s5, s7, s2
	s_add_i32 s3, s4, s3
	s_mul_i32 s2, s6, s2
	s_add_i32 s3, s3, s5
	s_lshl_b64 s[2:3], s[2:3], 2
	s_add_u32 s4, s14, s2
	s_addc_u32 s5, s15, s3
	s_lshl_b64 s[2:3], s[20:21], 2
	s_add_u32 s20, s4, s2
	s_addc_u32 s21, s5, s3
	s_mul_i32 s2, s6, s13
	s_mul_hi_u32 s3, s6, s12
	s_add_i32 s2, s3, s2
	s_mul_i32 s3, s7, s12
	s_add_i32 s3, s2, s3
	s_mul_i32 s2, s6, s12
	s_lshl_b64 s[2:3], s[2:3], 2
	s_add_u32 s6, s10, s2
	s_addc_u32 s7, s11, s3
	s_cmp_gt_i32 s19, 1
	s_cselect_b64 s[8:9], -1, 0
	v_cmp_eq_u32_e64 s[2:3], 0, v1
	v_lshrrev_b32_e32 v1, 4, v0
	v_cmp_eq_u32_e64 s[4:5], 0, v0
	v_lshlrev_b32_e32 v4, 2, v0
	v_mul_lo_u32 v5, v0, s17
	s_lshl_b32 s22, s17, 7
	v_mov_b32_e32 v6, 0
	v_and_b32_e32 v8, 63, v7
	s_branch .LBB6_20
.LBB6_19:                               ;   in Loop: Header=BB6_20 Depth=1
	s_or_b64 exec, exec, s[10:11]
	s_add_i32 s16, s16, 64
	s_cmp_ge_i32 s16, s18
	s_cbranch_scc1 .LBB6_37
.LBB6_20:                               ; =>This Loop Header: Depth=1
                                        ;     Child Loop BB6_22 Depth 2
                                        ;     Child Loop BB6_36 Depth 2
	s_ashr_i32 s17, s16, 31
	s_lshl_b64 s[10:11], s[16:17], 2
	s_add_u32 s17, s20, s10
	s_addc_u32 s23, s21, s11
	v_mov_b32_e32 v9, 0
	s_and_saveexec_b64 s[10:11], s[0:1]
	s_cbranch_execz .LBB6_24
; %bb.21:                               ;   in Loop: Header=BB6_20 Depth=1
	s_mov_b64 s[12:13], 0
	v_mov_b32_e32 v9, 0
	v_mov_b32_e32 v10, s23
	;; [unrolled: 1-line block ×5, first 2 shown]
.LBB6_22:                               ;   Parent Loop BB6_20 Depth=1
                                        ; =>  This Inner Loop Header: Depth=2
	v_ashrrev_i32_e32 v3, 31, v2
	v_lshlrev_b64 v[14:15], 2, v[2:3]
	v_add_co_u32_e32 v14, vcc, s17, v14
	v_addc_co_u32_e32 v15, vcc, v10, v15, vcc
	global_load_dword v3, v[14:15], off
	ds_read_b32 v13, v11
	v_add_u32_e32 v12, 0x80, v12
	v_cmp_le_i32_e32 vcc, s19, v12
	v_add_u32_e32 v11, 0x200, v11
	v_add_u32_e32 v2, s22, v2
	s_or_b64 s[12:13], vcc, s[12:13]
	s_waitcnt vmcnt(0) lgkmcnt(0)
	v_mul_f32_e32 v3, v13, v3
	v_add_f32_e32 v9, v9, v3
	s_andn2_b64 exec, exec, s[12:13]
	s_cbranch_execnz .LBB6_22
; %bb.23:                               ;   in Loop: Header=BB6_20 Depth=1
	s_or_b64 exec, exec, s[12:13]
.LBB6_24:                               ;   in Loop: Header=BB6_20 Depth=1
	s_or_b64 exec, exec, s[10:11]
	s_and_b64 vcc, exec, s[8:9]
	s_cbranch_vccz .LBB6_31
; %bb.25:                               ;   in Loop: Header=BB6_20 Depth=1
	v_cmp_ne_u32_e32 vcc, 63, v8
	v_addc_co_u32_e32 v2, vcc, 0, v7, vcc
	v_lshlrev_b32_e32 v2, 2, v2
	ds_bpermute_b32 v2, v2, v9
	v_cmp_gt_u32_e32 vcc, 62, v8
	v_cndmask_b32_e64 v3, 0, 1, vcc
	v_lshlrev_b32_e32 v3, 1, v3
	v_add_lshl_u32 v3, v3, v7, 2
	s_waitcnt lgkmcnt(0)
	v_add_f32_e32 v2, v9, v2
	ds_bpermute_b32 v3, v3, v2
	v_cmp_gt_u32_e32 vcc, 60, v8
	v_cndmask_b32_e64 v10, 0, 1, vcc
	v_cmp_gt_u32_e32 vcc, 56, v8
	s_waitcnt lgkmcnt(0)
	v_add_f32_e32 v2, v2, v3
	v_lshlrev_b32_e32 v3, 2, v10
	v_add_lshl_u32 v3, v3, v7, 2
	ds_bpermute_b32 v3, v3, v2
	v_cndmask_b32_e64 v10, 0, 1, vcc
	v_cmp_gt_u32_e32 vcc, 48, v8
	s_waitcnt lgkmcnt(0)
	v_add_f32_e32 v2, v2, v3
	v_lshlrev_b32_e32 v3, 3, v10
	v_add_lshl_u32 v3, v3, v7, 2
	ds_bpermute_b32 v3, v3, v2
	;; [unrolled: 7-line block ×3, first 2 shown]
	v_cndmask_b32_e64 v10, 0, 1, vcc
	s_waitcnt lgkmcnt(0)
	v_add_f32_e32 v2, v2, v3
	v_lshlrev_b32_e32 v3, 5, v10
	v_add_lshl_u32 v3, v3, v7, 2
	ds_bpermute_b32 v3, v3, v2
	s_waitcnt lgkmcnt(0)
	v_add_f32_e32 v3, v2, v3
	s_and_saveexec_b64 s[10:11], s[2:3]
	s_cbranch_execz .LBB6_27
; %bb.26:                               ;   in Loop: Header=BB6_20 Depth=1
	ds_write_b32 v1, v3 offset:8192
.LBB6_27:                               ;   in Loop: Header=BB6_20 Depth=1
	s_or_b64 exec, exec, s[10:11]
	s_mov_b64 s[12:13], 0
	s_mov_b64 s[10:11], 0
	s_waitcnt lgkmcnt(0)
	s_barrier
	s_waitcnt lgkmcnt(0)
                                        ; implicit-def: $vgpr2
	s_and_saveexec_b64 s[14:15], s[4:5]
	s_xor_b64 s[14:15], exec, s[14:15]
	s_cbranch_execz .LBB6_29
; %bb.28:                               ;   in Loop: Header=BB6_20 Depth=1
	ds_read_b32 v2, v6 offset:8196
	s_mov_b64 s[10:11], exec
	s_waitcnt lgkmcnt(0)
	v_add_f32_e32 v2, v3, v2
.LBB6_29:                               ;   in Loop: Header=BB6_20 Depth=1
	s_or_b64 exec, exec, s[14:15]
	s_and_b64 vcc, exec, s[12:13]
	s_cbranch_vccnz .LBB6_32
.LBB6_30:                               ;   in Loop: Header=BB6_20 Depth=1
	v_mov_b32_e32 v9, v2
	s_and_saveexec_b64 s[12:13], s[10:11]
	s_cbranch_execnz .LBB6_33
	s_branch .LBB6_34
.LBB6_31:                               ;   in Loop: Header=BB6_20 Depth=1
	s_mov_b64 s[10:11], 0
                                        ; implicit-def: $vgpr2
	s_cbranch_execz .LBB6_30
.LBB6_32:                               ;   in Loop: Header=BB6_20 Depth=1
	s_andn2_b64 s[10:11], s[10:11], exec
	s_and_b64 s[12:13], s[4:5], exec
	s_or_b64 s[10:11], s[10:11], s[12:13]
	s_and_saveexec_b64 s[12:13], s[10:11]
	s_cbranch_execz .LBB6_34
.LBB6_33:                               ;   in Loop: Header=BB6_20 Depth=1
	ds_write_b32 v6, v9 offset:8192
.LBB6_34:                               ;   in Loop: Header=BB6_20 Depth=1
	s_or_b64 exec, exec, s[12:13]
	s_waitcnt lgkmcnt(0)
	s_barrier
	s_and_saveexec_b64 s[10:11], s[0:1]
	s_cbranch_execz .LBB6_19
; %bb.35:                               ;   in Loop: Header=BB6_20 Depth=1
	global_load_dword v3, v6, s[6:7]
	ds_read_b32 v11, v6 offset:8192
	s_mov_b64 s[12:13], 0
	v_mov_b32_e32 v9, s23
	v_mov_b32_e32 v10, v4
	;; [unrolled: 1-line block ×4, first 2 shown]
	s_waitcnt vmcnt(0) lgkmcnt(0)
	v_mul_f32_e64 v11, v11, -v3
.LBB6_36:                               ;   Parent Loop BB6_20 Depth=1
                                        ; =>  This Inner Loop Header: Depth=2
	v_ashrrev_i32_e32 v3, 31, v2
	v_lshlrev_b64 v[14:15], 2, v[2:3]
	v_add_co_u32_e32 v14, vcc, s17, v14
	v_addc_co_u32_e32 v15, vcc, v9, v15, vcc
	global_load_dword v3, v[14:15], off
	ds_read_b32 v13, v10
	v_add_u32_e32 v12, 0x80, v12
	v_cmp_le_i32_e32 vcc, s19, v12
	v_add_u32_e32 v10, 0x200, v10
	v_add_u32_e32 v2, s22, v2
	s_or_b64 s[12:13], vcc, s[12:13]
	s_waitcnt vmcnt(0) lgkmcnt(0)
	v_fmac_f32_e32 v3, v11, v13
	global_store_dword v[14:15], v3, off
	s_andn2_b64 exec, exec, s[12:13]
	s_cbranch_execnz .LBB6_36
	s_branch .LBB6_19
.LBB6_37:
	s_endpgm
	.section	.rodata,"a",@progbits
	.p2align	6, 0x0
	.amdhsa_kernel _ZN9rocsolver6v33100L23larf_right_kernel_smallILi128EfiPfEEvT1_S3_T2_lS3_lPKT0_lS4_lS3_l
		.amdhsa_group_segment_fixed_size 8200
		.amdhsa_private_segment_fixed_size 0
		.amdhsa_kernarg_size 88
		.amdhsa_user_sgpr_count 6
		.amdhsa_user_sgpr_private_segment_buffer 1
		.amdhsa_user_sgpr_dispatch_ptr 0
		.amdhsa_user_sgpr_queue_ptr 0
		.amdhsa_user_sgpr_kernarg_segment_ptr 1
		.amdhsa_user_sgpr_dispatch_id 0
		.amdhsa_user_sgpr_flat_scratch_init 0
		.amdhsa_user_sgpr_kernarg_preload_length 0
		.amdhsa_user_sgpr_kernarg_preload_offset 0
		.amdhsa_user_sgpr_private_segment_size 0
		.amdhsa_uses_dynamic_stack 0
		.amdhsa_system_sgpr_private_segment_wavefront_offset 0
		.amdhsa_system_sgpr_workgroup_id_x 1
		.amdhsa_system_sgpr_workgroup_id_y 1
		.amdhsa_system_sgpr_workgroup_id_z 0
		.amdhsa_system_sgpr_workgroup_info 0
		.amdhsa_system_vgpr_workitem_id 0
		.amdhsa_next_free_vgpr 33
		.amdhsa_next_free_sgpr 34
		.amdhsa_accum_offset 36
		.amdhsa_reserve_vcc 1
		.amdhsa_reserve_flat_scratch 0
		.amdhsa_float_round_mode_32 0
		.amdhsa_float_round_mode_16_64 0
		.amdhsa_float_denorm_mode_32 3
		.amdhsa_float_denorm_mode_16_64 3
		.amdhsa_dx10_clamp 1
		.amdhsa_ieee_mode 1
		.amdhsa_fp16_overflow 0
		.amdhsa_tg_split 0
		.amdhsa_exception_fp_ieee_invalid_op 0
		.amdhsa_exception_fp_denorm_src 0
		.amdhsa_exception_fp_ieee_div_zero 0
		.amdhsa_exception_fp_ieee_overflow 0
		.amdhsa_exception_fp_ieee_underflow 0
		.amdhsa_exception_fp_ieee_inexact 0
		.amdhsa_exception_int_div_zero 0
	.end_amdhsa_kernel
	.section	.text._ZN9rocsolver6v33100L23larf_right_kernel_smallILi128EfiPfEEvT1_S3_T2_lS3_lPKT0_lS4_lS3_l,"axG",@progbits,_ZN9rocsolver6v33100L23larf_right_kernel_smallILi128EfiPfEEvT1_S3_T2_lS3_lPKT0_lS4_lS3_l,comdat
.Lfunc_end6:
	.size	_ZN9rocsolver6v33100L23larf_right_kernel_smallILi128EfiPfEEvT1_S3_T2_lS3_lPKT0_lS4_lS3_l, .Lfunc_end6-_ZN9rocsolver6v33100L23larf_right_kernel_smallILi128EfiPfEEvT1_S3_T2_lS3_lPKT0_lS4_lS3_l
                                        ; -- End function
	.section	.AMDGPU.csdata,"",@progbits
; Kernel info:
; codeLenInByte = 2140
; NumSgprs: 38
; NumVgprs: 33
; NumAgprs: 0
; TotalNumVgprs: 33
; ScratchSize: 0
; MemoryBound: 0
; FloatMode: 240
; IeeeMode: 1
; LDSByteSize: 8200 bytes/workgroup (compile time only)
; SGPRBlocks: 4
; VGPRBlocks: 4
; NumSGPRsForWavesPerEU: 38
; NumVGPRsForWavesPerEU: 33
; AccumOffset: 36
; Occupancy: 4
; WaveLimiterHint : 0
; COMPUTE_PGM_RSRC2:SCRATCH_EN: 0
; COMPUTE_PGM_RSRC2:USER_SGPR: 6
; COMPUTE_PGM_RSRC2:TRAP_HANDLER: 0
; COMPUTE_PGM_RSRC2:TGID_X_EN: 1
; COMPUTE_PGM_RSRC2:TGID_Y_EN: 1
; COMPUTE_PGM_RSRC2:TGID_Z_EN: 0
; COMPUTE_PGM_RSRC2:TIDIG_COMP_CNT: 0
; COMPUTE_PGM_RSRC3_GFX90A:ACCUM_OFFSET: 8
; COMPUTE_PGM_RSRC3_GFX90A:TG_SPLIT: 0
	.section	.text._ZN9rocsolver6v33100L23larf_right_kernel_smallILi256EfiPfEEvT1_S3_T2_lS3_lPKT0_lS4_lS3_l,"axG",@progbits,_ZN9rocsolver6v33100L23larf_right_kernel_smallILi256EfiPfEEvT1_S3_T2_lS3_lPKT0_lS4_lS3_l,comdat
	.globl	_ZN9rocsolver6v33100L23larf_right_kernel_smallILi256EfiPfEEvT1_S3_T2_lS3_lPKT0_lS4_lS3_l ; -- Begin function _ZN9rocsolver6v33100L23larf_right_kernel_smallILi256EfiPfEEvT1_S3_T2_lS3_lPKT0_lS4_lS3_l
	.p2align	8
	.type	_ZN9rocsolver6v33100L23larf_right_kernel_smallILi256EfiPfEEvT1_S3_T2_lS3_lPKT0_lS4_lS3_l,@function
_ZN9rocsolver6v33100L23larf_right_kernel_smallILi256EfiPfEEvT1_S3_T2_lS3_lPKT0_lS4_lS3_l: ; @_ZN9rocsolver6v33100L23larf_right_kernel_smallILi256EfiPfEEvT1_S3_T2_lS3_lPKT0_lS4_lS3_l
; %bb.0:
	s_load_dwordx2 s[18:19], s[4:5], 0x0
	s_load_dwordx8 s[8:15], s[4:5], 0x20
	s_load_dwordx2 s[20:21], s[4:5], 0x40
	s_mov_b32 s16, s7
	s_ashr_i32 s7, s6, 31
	s_waitcnt lgkmcnt(0)
	v_cmp_gt_i32_e64 s[0:1], s19, v0
	s_and_saveexec_b64 s[22:23], s[0:1]
	s_cbranch_execz .LBB7_17
; %bb.1:
	s_load_dwordx4 s[24:27], s[4:5], 0x8
	s_load_dword s28, s[4:5], 0x18
	s_mul_i32 s2, s6, s9
	s_mul_hi_u32 s3, s6, s8
	s_add_i32 s2, s3, s2
	s_mul_i32 s3, s7, s8
	s_add_i32 s3, s2, s3
	s_mul_i32 s2, s6, s8
	s_lshl_b64 s[2:3], s[2:3], 2
	s_waitcnt lgkmcnt(0)
	s_add_u32 s8, s24, s2
	s_addc_u32 s9, s25, s3
	s_lshl_b64 s[2:3], s[26:27], 2
	s_add_u32 s17, s8, s2
	s_addc_u32 s29, s9, s3
	s_sub_i32 s2, 1, s19
	s_mul_i32 s2, s2, s28
	s_cmp_lt_i32 s28, 1
	s_cselect_b32 s30, s2, 0
	v_xad_u32 v2, v0, -1, s19
	s_movk_i32 s2, 0x16ff
	v_cmp_lt_u32_e32 vcc, s2, v2
	s_mov_b64 s[2:3], 0
                                        ; implicit-def: $vgpr1
                                        ; implicit-def: $sgpr31
	s_and_saveexec_b64 s[8:9], vcc
	s_xor_b64 s[24:25], exec, s[8:9]
	s_cbranch_execnz .LBB7_4
; %bb.2:
	s_or_saveexec_b64 s[8:9], s[24:25]
	v_mov_b32_e32 v4, s31
	s_xor_b64 exec, exec, s[8:9]
	s_cbranch_execnz .LBB7_14
.LBB7_3:
	s_or_b64 exec, exec, s[8:9]
	s_and_b64 exec, exec, s[2:3]
	s_cbranch_execnz .LBB7_15
	s_branch .LBB7_17
.LBB7_4:
	s_lshl_b32 s31, s28, 8
	s_sub_i32 s8, 0, s31
	s_cmp_lt_i32 s31, 0
	s_cselect_b64 vcc, -1, 0
	s_and_b64 s[2:3], vcc, exec
	v_lshrrev_b32_e32 v4, 8, v2
	s_cselect_b32 s8, s8, s31
	v_mul_lo_u32 v1, v0, s28
	v_mul_hi_u32 v2, s8, v4
	v_add_u32_e32 v1, s30, v1
	v_cmp_eq_u32_e64 s[2:3], 0, v2
	v_mul_lo_u32 v2, s8, v4
	v_add_u32_e32 v3, v1, v2
	v_sub_u32_e32 v2, v1, v2
	v_cmp_gt_i32_e64 s[8:9], v2, v1
	v_cndmask_b32_e64 v2, 0, 1, s[8:9]
	v_cmp_lt_i32_e64 s[8:9], v3, v1
	v_cndmask_b32_e64 v1, 0, 1, s[8:9]
	v_cndmask_b32_e32 v1, v1, v2, vcc
	v_and_b32_e32 v1, 1, v1
	v_cmp_eq_u32_e32 vcc, 1, v1
	s_xor_b64 s[26:27], vcc, -1
	s_mov_b64 s[8:9], -1
	s_and_b64 s[26:27], s[26:27], s[2:3]
	v_mov_b32_e32 v1, v0
	s_and_saveexec_b64 s[2:3], s[26:27]
	s_cbranch_execz .LBB7_13
; %bb.5:
	v_add_u32_e32 v2, -1, v4
	v_or_b32_e32 v1, 0x100, v0
	v_lshrrev_b32_e32 v3, 1, v2
	v_add_u32_e32 v5, 1, v3
	v_cmp_lt_u32_e32 vcc, 5, v2
	v_mov_b32_e32 v9, 0
	v_pk_mov_b32 v[2:3], v[0:1], v[0:1] op_sel:[0,1]
	s_and_saveexec_b64 s[8:9], vcc
	s_cbranch_execz .LBB7_9
; %bb.6:
	v_and_b32_e32 v6, -4, v5
	v_lshlrev_b32_e32 v7, 2, v0
	s_mov_b32 s33, 0
	s_mov_b64 s[26:27], 0
	v_mov_b32_e32 v8, s29
	v_pk_mov_b32 v[2:3], v[0:1], v[0:1] op_sel:[0,1]
.LBB7_7:                                ; =>This Inner Loop Header: Depth=1
	v_mul_lo_u32 v9, v2, s28
	v_add_u32_e32 v11, 0x200, v2
	v_add_u32_e32 v10, s30, v9
	v_mul_lo_u32 v1, v3, s28
	v_mul_lo_u32 v9, v11, s28
	v_ashrrev_i32_e32 v11, 31, v10
	v_add_u32_e32 v13, 0x200, v3
	v_add_u32_e32 v12, s30, v1
	v_lshlrev_b64 v[10:11], 2, v[10:11]
	v_add_u32_e32 v14, 0x400, v2
	v_add_u32_e32 v15, 0x400, v3
	v_mul_lo_u32 v1, v13, s28
	v_ashrrev_i32_e32 v13, 31, v12
	v_add_co_u32_e32 v10, vcc, s17, v10
	v_mul_lo_u32 v15, v15, s28
	v_mul_lo_u32 v18, v14, s28
	v_add_u32_e32 v14, s30, v9
	v_lshlrev_b64 v[12:13], 2, v[12:13]
	v_addc_co_u32_e32 v11, vcc, v8, v11, vcc
	v_add_u32_e32 v16, 0x600, v2
	v_add_u32_e32 v17, 0x600, v3
	;; [unrolled: 1-line block ×3, first 2 shown]
	v_ashrrev_i32_e32 v15, 31, v14
	v_add_co_u32_e32 v12, vcc, s17, v12
	v_mul_lo_u32 v17, v17, s28
	v_mul_lo_u32 v19, v16, s28
	v_add_u32_e32 v16, s30, v1
	v_addc_co_u32_e32 v13, vcc, v8, v13, vcc
	v_lshlrev_b64 v[14:15], 2, v[14:15]
	v_add_u32_e32 v24, s30, v17
	v_ashrrev_i32_e32 v17, 31, v16
	v_add_co_u32_e32 v14, vcc, s17, v14
	v_add_u32_e32 v18, s30, v18
	v_lshlrev_b64 v[16:17], 2, v[16:17]
	v_addc_co_u32_e32 v15, vcc, v8, v15, vcc
	v_add_u32_e32 v22, s30, v19
	v_ashrrev_i32_e32 v19, 31, v18
	v_add_co_u32_e32 v16, vcc, s17, v16
	v_lshlrev_b64 v[18:19], 2, v[18:19]
	v_addc_co_u32_e32 v17, vcc, v8, v17, vcc
	v_ashrrev_i32_e32 v21, 31, v20
	v_add_co_u32_e32 v18, vcc, s17, v18
	v_lshlrev_b64 v[20:21], 2, v[20:21]
	v_addc_co_u32_e32 v19, vcc, v8, v19, vcc
	;; [unrolled: 4-line block ×4, first 2 shown]
	v_add_co_u32_e32 v24, vcc, s17, v24
	v_addc_co_u32_e32 v25, vcc, v8, v25, vcc
	global_load_dword v1, v[10:11], off
	global_load_dword v26, v[12:13], off
	;; [unrolled: 1-line block ×8, first 2 shown]
	v_add_u32_e32 v6, -4, v6
	s_add_i32 s33, s33, 8
	v_cmp_eq_u32_e32 vcc, 0, v6
	v_add_u32_e32 v3, 0x800, v3
	v_add_u32_e32 v2, 0x800, v2
	v_mov_b32_e32 v9, s33
	s_or_b64 s[26:27], vcc, s[26:27]
	s_waitcnt vmcnt(6)
	ds_write2st64_b32 v7, v1, v26 offset1:4
	s_waitcnt vmcnt(4)
	ds_write2st64_b32 v7, v27, v28 offset0:8 offset1:12
	s_waitcnt vmcnt(2)
	ds_write2st64_b32 v7, v29, v30 offset0:16 offset1:20
	;; [unrolled: 2-line block ×3, first 2 shown]
	v_add_u32_e32 v7, 0x2000, v7
	s_andn2_b64 exec, exec, s[26:27]
	s_cbranch_execnz .LBB7_7
; %bb.8:
	s_or_b64 exec, exec, s[26:27]
.LBB7_9:
	s_or_b64 exec, exec, s[8:9]
	v_and_b32_e32 v1, 3, v5
	v_cmp_ne_u32_e32 vcc, 0, v1
	s_and_saveexec_b64 s[8:9], vcc
	s_cbranch_execz .LBB7_12
; %bb.10:
	v_lshlrev_b32_e32 v5, 2, v0
	v_lshl_or_b32 v5, v9, 10, v5
	s_mov_b64 s[26:27], 0
	v_mov_b32_e32 v6, s29
.LBB7_11:                               ; =>This Inner Loop Header: Depth=1
	v_mul_lo_u32 v8, v2, s28
	v_add_u32_e32 v8, s30, v8
	v_mul_lo_u32 v7, v3, s28
	v_ashrrev_i32_e32 v9, 31, v8
	v_add_u32_e32 v10, s30, v7
	v_lshlrev_b64 v[8:9], 2, v[8:9]
	v_ashrrev_i32_e32 v11, 31, v10
	v_add_co_u32_e32 v8, vcc, s17, v8
	v_lshlrev_b64 v[10:11], 2, v[10:11]
	v_addc_co_u32_e32 v9, vcc, v6, v9, vcc
	v_add_co_u32_e32 v10, vcc, s17, v10
	v_addc_co_u32_e32 v11, vcc, v6, v11, vcc
	global_load_dword v7, v[8:9], off
	global_load_dword v12, v[10:11], off
	v_add_u32_e32 v1, -1, v1
	v_cmp_eq_u32_e32 vcc, 0, v1
	v_add_u32_e32 v3, 0x200, v3
	v_add_u32_e32 v2, 0x200, v2
	s_or_b64 s[26:27], vcc, s[26:27]
	s_waitcnt vmcnt(0)
	ds_write2st64_b32 v5, v7, v12 offset1:4
	v_add_u32_e32 v5, 0x800, v5
	s_andn2_b64 exec, exec, s[26:27]
	s_cbranch_execnz .LBB7_11
.LBB7_12:
	s_or_b64 exec, exec, s[8:9]
	v_add_u32_e32 v2, 1, v4
	v_and_b32_e32 v3, 0x1fffffe, v2
	v_cmp_ne_u32_e32 vcc, v2, v3
	v_lshl_or_b32 v1, v3, 8, v0
	s_orn2_b64 s[8:9], vcc, exec
.LBB7_13:
	s_or_b64 exec, exec, s[2:3]
	s_and_b64 s[2:3], s[8:9], exec
	s_or_saveexec_b64 s[8:9], s[24:25]
	v_mov_b32_e32 v4, s31
	s_xor_b64 exec, exec, s[8:9]
	s_cbranch_execz .LBB7_3
.LBB7_14:
	s_lshl_b32 s24, s28, 8
	v_mov_b32_e32 v4, s24
	s_or_b64 s[2:3], s[2:3], exec
	v_mov_b32_e32 v1, v0
	s_or_b64 exec, exec, s[8:9]
	s_and_b64 exec, exec, s[2:3]
	s_cbranch_execz .LBB7_17
.LBB7_15:
	v_mul_lo_u32 v2, v1, s28
	v_add_u32_e32 v2, s30, v2
	v_lshlrev_b32_e32 v5, 2, v1
	s_mov_b64 s[2:3], 0
	v_mov_b32_e32 v6, s29
.LBB7_16:                               ; =>This Inner Loop Header: Depth=1
	v_ashrrev_i32_e32 v3, 31, v2
	v_lshlrev_b64 v[8:9], 2, v[2:3]
	v_add_co_u32_e32 v8, vcc, s17, v8
	v_addc_co_u32_e32 v9, vcc, v6, v9, vcc
	global_load_dword v3, v[8:9], off
	v_add_u32_e32 v1, 0x100, v1
	v_cmp_le_i32_e32 vcc, s19, v1
	v_add_u32_e32 v2, v2, v4
	s_or_b64 s[2:3], vcc, s[2:3]
	s_waitcnt vmcnt(0)
	ds_write_b32 v5, v3
	v_add_u32_e32 v5, 0x400, v5
	s_andn2_b64 exec, exec, s[2:3]
	s_cbranch_execnz .LBB7_16
.LBB7_17:
	s_or_b64 exec, exec, s[22:23]
	s_cmp_ge_i32 s16, s18
	s_waitcnt lgkmcnt(0)
	s_barrier
	s_cbranch_scc1 .LBB7_37
; %bb.18:
	s_load_dwordx2 s[2:3], s[4:5], 0x50
	s_load_dword s17, s[4:5], 0x48
	v_mbcnt_lo_u32_b32 v2, -1, 0
	v_and_b32_e32 v1, 63, v0
	v_mbcnt_hi_u32_b32 v8, -1, v2
	s_waitcnt lgkmcnt(0)
	s_mul_i32 s3, s6, s3
	s_mul_hi_u32 s4, s6, s2
	s_mul_i32 s5, s7, s2
	s_add_i32 s3, s4, s3
	s_mul_i32 s2, s6, s2
	s_add_i32 s3, s3, s5
	s_lshl_b64 s[2:3], s[2:3], 2
	s_add_u32 s4, s14, s2
	s_addc_u32 s5, s15, s3
	s_lshl_b64 s[2:3], s[20:21], 2
	s_add_u32 s20, s4, s2
	s_addc_u32 s21, s5, s3
	s_mul_i32 s2, s6, s13
	s_mul_hi_u32 s3, s6, s12
	s_add_i32 s2, s3, s2
	s_mul_i32 s3, s7, s12
	s_add_i32 s3, s2, s3
	s_mul_i32 s2, s6, s12
	s_lshl_b64 s[2:3], s[2:3], 2
	s_add_u32 s6, s10, s2
	s_addc_u32 s7, s11, s3
	s_cmp_gt_i32 s19, 1
	s_cselect_b64 s[8:9], -1, 0
	v_cmp_eq_u32_e64 s[2:3], 0, v1
	v_lshrrev_b32_e32 v1, 4, v0
	v_cmp_eq_u32_e64 s[4:5], 0, v0
	v_lshlrev_b32_e32 v4, 2, v0
	v_mul_lo_u32 v5, v0, s17
	s_lshl_b32 s22, s17, 8
	v_mov_b32_e32 v6, 0x2004
	v_mov_b32_e32 v7, 0
	v_and_b32_e32 v9, 63, v8
	s_branch .LBB7_20
.LBB7_19:                               ;   in Loop: Header=BB7_20 Depth=1
	s_or_b64 exec, exec, s[10:11]
	s_add_i32 s16, s16, 64
	s_cmp_ge_i32 s16, s18
	s_cbranch_scc1 .LBB7_37
.LBB7_20:                               ; =>This Loop Header: Depth=1
                                        ;     Child Loop BB7_22 Depth 2
                                        ;     Child Loop BB7_36 Depth 2
	s_ashr_i32 s17, s16, 31
	s_lshl_b64 s[10:11], s[16:17], 2
	s_add_u32 s17, s20, s10
	s_addc_u32 s23, s21, s11
	v_mov_b32_e32 v10, 0
	s_and_saveexec_b64 s[10:11], s[0:1]
	s_cbranch_execz .LBB7_24
; %bb.21:                               ;   in Loop: Header=BB7_20 Depth=1
	s_mov_b64 s[12:13], 0
	v_mov_b32_e32 v10, 0
	v_mov_b32_e32 v11, s23
	;; [unrolled: 1-line block ×5, first 2 shown]
.LBB7_22:                               ;   Parent Loop BB7_20 Depth=1
                                        ; =>  This Inner Loop Header: Depth=2
	v_ashrrev_i32_e32 v3, 31, v2
	v_lshlrev_b64 v[14:15], 2, v[2:3]
	v_add_co_u32_e32 v14, vcc, s17, v14
	v_addc_co_u32_e32 v15, vcc, v11, v15, vcc
	global_load_dword v3, v[14:15], off
	ds_read_b32 v14, v12
	v_add_u32_e32 v13, 0x100, v13
	v_cmp_le_i32_e32 vcc, s19, v13
	v_add_u32_e32 v12, 0x400, v12
	v_add_u32_e32 v2, s22, v2
	s_or_b64 s[12:13], vcc, s[12:13]
	s_waitcnt vmcnt(0) lgkmcnt(0)
	v_mul_f32_e32 v3, v14, v3
	v_add_f32_e32 v10, v10, v3
	s_andn2_b64 exec, exec, s[12:13]
	s_cbranch_execnz .LBB7_22
; %bb.23:                               ;   in Loop: Header=BB7_20 Depth=1
	s_or_b64 exec, exec, s[12:13]
.LBB7_24:                               ;   in Loop: Header=BB7_20 Depth=1
	s_or_b64 exec, exec, s[10:11]
	s_and_b64 vcc, exec, s[8:9]
	s_cbranch_vccz .LBB7_31
; %bb.25:                               ;   in Loop: Header=BB7_20 Depth=1
	v_cmp_ne_u32_e32 vcc, 63, v9
	v_addc_co_u32_e32 v2, vcc, 0, v8, vcc
	v_lshlrev_b32_e32 v2, 2, v2
	ds_bpermute_b32 v2, v2, v10
	v_cmp_gt_u32_e32 vcc, 62, v9
	v_cndmask_b32_e64 v3, 0, 1, vcc
	v_lshlrev_b32_e32 v3, 1, v3
	v_add_lshl_u32 v3, v3, v8, 2
	s_waitcnt lgkmcnt(0)
	v_add_f32_e32 v2, v10, v2
	ds_bpermute_b32 v3, v3, v2
	v_cmp_gt_u32_e32 vcc, 60, v9
	v_cndmask_b32_e64 v11, 0, 1, vcc
	v_cmp_gt_u32_e32 vcc, 56, v9
	s_waitcnt lgkmcnt(0)
	v_add_f32_e32 v2, v2, v3
	v_lshlrev_b32_e32 v3, 2, v11
	v_add_lshl_u32 v3, v3, v8, 2
	ds_bpermute_b32 v3, v3, v2
	v_cndmask_b32_e64 v11, 0, 1, vcc
	v_cmp_gt_u32_e32 vcc, 48, v9
	s_waitcnt lgkmcnt(0)
	v_add_f32_e32 v2, v2, v3
	v_lshlrev_b32_e32 v3, 3, v11
	v_add_lshl_u32 v3, v3, v8, 2
	ds_bpermute_b32 v3, v3, v2
	;; [unrolled: 7-line block ×3, first 2 shown]
	v_cndmask_b32_e64 v11, 0, 1, vcc
	s_waitcnt lgkmcnt(0)
	v_add_f32_e32 v2, v2, v3
	v_lshlrev_b32_e32 v3, 5, v11
	v_add_lshl_u32 v3, v3, v8, 2
	ds_bpermute_b32 v3, v3, v2
	s_waitcnt lgkmcnt(0)
	v_add_f32_e32 v3, v2, v3
	s_and_saveexec_b64 s[10:11], s[2:3]
	s_cbranch_execz .LBB7_27
; %bb.26:                               ;   in Loop: Header=BB7_20 Depth=1
	ds_write_b32 v1, v3 offset:8192
.LBB7_27:                               ;   in Loop: Header=BB7_20 Depth=1
	s_or_b64 exec, exec, s[10:11]
	s_mov_b64 s[12:13], 0
	s_mov_b64 s[10:11], 0
	s_waitcnt lgkmcnt(0)
	s_barrier
	s_waitcnt lgkmcnt(0)
                                        ; implicit-def: $vgpr2
	s_and_saveexec_b64 s[14:15], s[4:5]
	s_xor_b64 s[14:15], exec, s[14:15]
	s_cbranch_execz .LBB7_29
; %bb.28:                               ;   in Loop: Header=BB7_20 Depth=1
	ds_read2_b32 v[12:13], v6 offset1:1
	ds_read_b32 v2, v7 offset:8204
	s_mov_b64 s[10:11], exec
	s_waitcnt lgkmcnt(1)
	v_add_f32_e32 v3, v3, v12
	v_add_f32_e32 v3, v3, v13
	s_waitcnt lgkmcnt(0)
	v_add_f32_e32 v2, v3, v2
.LBB7_29:                               ;   in Loop: Header=BB7_20 Depth=1
	s_or_b64 exec, exec, s[14:15]
	s_and_b64 vcc, exec, s[12:13]
	s_cbranch_vccnz .LBB7_32
.LBB7_30:                               ;   in Loop: Header=BB7_20 Depth=1
	v_mov_b32_e32 v10, v2
	s_and_saveexec_b64 s[12:13], s[10:11]
	s_cbranch_execnz .LBB7_33
	s_branch .LBB7_34
.LBB7_31:                               ;   in Loop: Header=BB7_20 Depth=1
	s_mov_b64 s[10:11], 0
                                        ; implicit-def: $vgpr2
	s_cbranch_execz .LBB7_30
.LBB7_32:                               ;   in Loop: Header=BB7_20 Depth=1
	s_andn2_b64 s[10:11], s[10:11], exec
	s_and_b64 s[12:13], s[4:5], exec
	s_or_b64 s[10:11], s[10:11], s[12:13]
	s_and_saveexec_b64 s[12:13], s[10:11]
	s_cbranch_execz .LBB7_34
.LBB7_33:                               ;   in Loop: Header=BB7_20 Depth=1
	ds_write_b32 v7, v10 offset:8192
.LBB7_34:                               ;   in Loop: Header=BB7_20 Depth=1
	s_or_b64 exec, exec, s[12:13]
	s_waitcnt lgkmcnt(0)
	s_barrier
	s_and_saveexec_b64 s[10:11], s[0:1]
	s_cbranch_execz .LBB7_19
; %bb.35:                               ;   in Loop: Header=BB7_20 Depth=1
	global_load_dword v3, v7, s[6:7]
	ds_read_b32 v12, v7 offset:8192
	s_mov_b64 s[12:13], 0
	v_mov_b32_e32 v10, s23
	v_mov_b32_e32 v11, v4
	v_mov_b32_e32 v2, v5
	v_mov_b32_e32 v13, v0
	s_waitcnt vmcnt(0) lgkmcnt(0)
	v_mul_f32_e64 v12, v12, -v3
.LBB7_36:                               ;   Parent Loop BB7_20 Depth=1
                                        ; =>  This Inner Loop Header: Depth=2
	v_ashrrev_i32_e32 v3, 31, v2
	v_lshlrev_b64 v[14:15], 2, v[2:3]
	v_add_co_u32_e32 v14, vcc, s17, v14
	v_addc_co_u32_e32 v15, vcc, v10, v15, vcc
	global_load_dword v3, v[14:15], off
	ds_read_b32 v16, v11
	v_add_u32_e32 v13, 0x100, v13
	v_cmp_le_i32_e32 vcc, s19, v13
	v_add_u32_e32 v11, 0x400, v11
	v_add_u32_e32 v2, s22, v2
	s_or_b64 s[12:13], vcc, s[12:13]
	s_waitcnt vmcnt(0) lgkmcnt(0)
	v_fmac_f32_e32 v3, v12, v16
	global_store_dword v[14:15], v3, off
	s_andn2_b64 exec, exec, s[12:13]
	s_cbranch_execnz .LBB7_36
	s_branch .LBB7_19
.LBB7_37:
	s_endpgm
	.section	.rodata,"a",@progbits
	.p2align	6, 0x0
	.amdhsa_kernel _ZN9rocsolver6v33100L23larf_right_kernel_smallILi256EfiPfEEvT1_S3_T2_lS3_lPKT0_lS4_lS3_l
		.amdhsa_group_segment_fixed_size 8208
		.amdhsa_private_segment_fixed_size 0
		.amdhsa_kernarg_size 88
		.amdhsa_user_sgpr_count 6
		.amdhsa_user_sgpr_private_segment_buffer 1
		.amdhsa_user_sgpr_dispatch_ptr 0
		.amdhsa_user_sgpr_queue_ptr 0
		.amdhsa_user_sgpr_kernarg_segment_ptr 1
		.amdhsa_user_sgpr_dispatch_id 0
		.amdhsa_user_sgpr_flat_scratch_init 0
		.amdhsa_user_sgpr_kernarg_preload_length 0
		.amdhsa_user_sgpr_kernarg_preload_offset 0
		.amdhsa_user_sgpr_private_segment_size 0
		.amdhsa_uses_dynamic_stack 0
		.amdhsa_system_sgpr_private_segment_wavefront_offset 0
		.amdhsa_system_sgpr_workgroup_id_x 1
		.amdhsa_system_sgpr_workgroup_id_y 1
		.amdhsa_system_sgpr_workgroup_id_z 0
		.amdhsa_system_sgpr_workgroup_info 0
		.amdhsa_system_vgpr_workitem_id 0
		.amdhsa_next_free_vgpr 33
		.amdhsa_next_free_sgpr 34
		.amdhsa_accum_offset 36
		.amdhsa_reserve_vcc 1
		.amdhsa_reserve_flat_scratch 0
		.amdhsa_float_round_mode_32 0
		.amdhsa_float_round_mode_16_64 0
		.amdhsa_float_denorm_mode_32 3
		.amdhsa_float_denorm_mode_16_64 3
		.amdhsa_dx10_clamp 1
		.amdhsa_ieee_mode 1
		.amdhsa_fp16_overflow 0
		.amdhsa_tg_split 0
		.amdhsa_exception_fp_ieee_invalid_op 0
		.amdhsa_exception_fp_denorm_src 0
		.amdhsa_exception_fp_ieee_div_zero 0
		.amdhsa_exception_fp_ieee_overflow 0
		.amdhsa_exception_fp_ieee_underflow 0
		.amdhsa_exception_fp_ieee_inexact 0
		.amdhsa_exception_int_div_zero 0
	.end_amdhsa_kernel
	.section	.text._ZN9rocsolver6v33100L23larf_right_kernel_smallILi256EfiPfEEvT1_S3_T2_lS3_lPKT0_lS4_lS3_l,"axG",@progbits,_ZN9rocsolver6v33100L23larf_right_kernel_smallILi256EfiPfEEvT1_S3_T2_lS3_lPKT0_lS4_lS3_l,comdat
.Lfunc_end7:
	.size	_ZN9rocsolver6v33100L23larf_right_kernel_smallILi256EfiPfEEvT1_S3_T2_lS3_lPKT0_lS4_lS3_l, .Lfunc_end7-_ZN9rocsolver6v33100L23larf_right_kernel_smallILi256EfiPfEEvT1_S3_T2_lS3_lPKT0_lS4_lS3_l
                                        ; -- End function
	.section	.AMDGPU.csdata,"",@progbits
; Kernel info:
; codeLenInByte = 2168
; NumSgprs: 38
; NumVgprs: 33
; NumAgprs: 0
; TotalNumVgprs: 33
; ScratchSize: 0
; MemoryBound: 0
; FloatMode: 240
; IeeeMode: 1
; LDSByteSize: 8208 bytes/workgroup (compile time only)
; SGPRBlocks: 4
; VGPRBlocks: 4
; NumSGPRsForWavesPerEU: 38
; NumVGPRsForWavesPerEU: 33
; AccumOffset: 36
; Occupancy: 7
; WaveLimiterHint : 0
; COMPUTE_PGM_RSRC2:SCRATCH_EN: 0
; COMPUTE_PGM_RSRC2:USER_SGPR: 6
; COMPUTE_PGM_RSRC2:TRAP_HANDLER: 0
; COMPUTE_PGM_RSRC2:TGID_X_EN: 1
; COMPUTE_PGM_RSRC2:TGID_Y_EN: 1
; COMPUTE_PGM_RSRC2:TGID_Z_EN: 0
; COMPUTE_PGM_RSRC2:TIDIG_COMP_CNT: 0
; COMPUTE_PGM_RSRC3_GFX90A:ACCUM_OFFSET: 8
; COMPUTE_PGM_RSRC3_GFX90A:TG_SPLIT: 0
	.section	.text._ZN9rocsolver6v33100L23larf_right_kernel_smallILi512EfiPfEEvT1_S3_T2_lS3_lPKT0_lS4_lS3_l,"axG",@progbits,_ZN9rocsolver6v33100L23larf_right_kernel_smallILi512EfiPfEEvT1_S3_T2_lS3_lPKT0_lS4_lS3_l,comdat
	.globl	_ZN9rocsolver6v33100L23larf_right_kernel_smallILi512EfiPfEEvT1_S3_T2_lS3_lPKT0_lS4_lS3_l ; -- Begin function _ZN9rocsolver6v33100L23larf_right_kernel_smallILi512EfiPfEEvT1_S3_T2_lS3_lPKT0_lS4_lS3_l
	.p2align	8
	.type	_ZN9rocsolver6v33100L23larf_right_kernel_smallILi512EfiPfEEvT1_S3_T2_lS3_lPKT0_lS4_lS3_l,@function
_ZN9rocsolver6v33100L23larf_right_kernel_smallILi512EfiPfEEvT1_S3_T2_lS3_lPKT0_lS4_lS3_l: ; @_ZN9rocsolver6v33100L23larf_right_kernel_smallILi512EfiPfEEvT1_S3_T2_lS3_lPKT0_lS4_lS3_l
; %bb.0:
	s_load_dwordx2 s[18:19], s[4:5], 0x0
	s_load_dwordx8 s[8:15], s[4:5], 0x20
	s_load_dwordx2 s[20:21], s[4:5], 0x40
	s_mov_b32 s16, s7
	s_ashr_i32 s7, s6, 31
	s_waitcnt lgkmcnt(0)
	v_cmp_gt_i32_e64 s[0:1], s19, v0
	s_and_saveexec_b64 s[22:23], s[0:1]
	s_cbranch_execz .LBB8_17
; %bb.1:
	s_load_dwordx4 s[24:27], s[4:5], 0x8
	s_load_dword s28, s[4:5], 0x18
	s_mul_i32 s2, s6, s9
	s_mul_hi_u32 s3, s6, s8
	s_add_i32 s2, s3, s2
	s_mul_i32 s3, s7, s8
	s_add_i32 s3, s2, s3
	s_mul_i32 s2, s6, s8
	s_lshl_b64 s[2:3], s[2:3], 2
	s_waitcnt lgkmcnt(0)
	s_add_u32 s8, s24, s2
	s_addc_u32 s9, s25, s3
	s_lshl_b64 s[2:3], s[26:27], 2
	s_add_u32 s17, s8, s2
	s_addc_u32 s29, s9, s3
	s_sub_i32 s2, 1, s19
	s_mul_i32 s2, s2, s28
	s_cmp_lt_i32 s28, 1
	s_cselect_b32 s30, s2, 0
	v_xad_u32 v2, v0, -1, s19
	s_movk_i32 s2, 0x2dff
	v_cmp_lt_u32_e32 vcc, s2, v2
	s_mov_b64 s[2:3], 0
                                        ; implicit-def: $vgpr1
                                        ; implicit-def: $sgpr31
	s_and_saveexec_b64 s[8:9], vcc
	s_xor_b64 s[24:25], exec, s[8:9]
	s_cbranch_execnz .LBB8_4
; %bb.2:
	s_or_saveexec_b64 s[8:9], s[24:25]
	v_mov_b32_e32 v4, s31
	s_xor_b64 exec, exec, s[8:9]
	s_cbranch_execnz .LBB8_14
.LBB8_3:
	s_or_b64 exec, exec, s[8:9]
	s_and_b64 exec, exec, s[2:3]
	s_cbranch_execnz .LBB8_15
	s_branch .LBB8_17
.LBB8_4:
	s_lshl_b32 s31, s28, 9
	s_sub_i32 s8, 0, s31
	s_cmp_lt_i32 s31, 0
	s_cselect_b64 vcc, -1, 0
	s_and_b64 s[2:3], vcc, exec
	v_lshrrev_b32_e32 v4, 9, v2
	s_cselect_b32 s8, s8, s31
	v_mul_lo_u32 v1, v0, s28
	v_mul_hi_u32 v2, s8, v4
	v_add_u32_e32 v1, s30, v1
	v_cmp_eq_u32_e64 s[2:3], 0, v2
	v_mul_lo_u32 v2, s8, v4
	v_add_u32_e32 v3, v1, v2
	v_sub_u32_e32 v2, v1, v2
	v_cmp_gt_i32_e64 s[8:9], v2, v1
	v_cndmask_b32_e64 v2, 0, 1, s[8:9]
	v_cmp_lt_i32_e64 s[8:9], v3, v1
	v_cndmask_b32_e64 v1, 0, 1, s[8:9]
	v_cndmask_b32_e32 v1, v1, v2, vcc
	v_and_b32_e32 v1, 1, v1
	v_cmp_eq_u32_e32 vcc, 1, v1
	s_xor_b64 s[26:27], vcc, -1
	s_mov_b64 s[8:9], -1
	s_and_b64 s[26:27], s[26:27], s[2:3]
	v_mov_b32_e32 v1, v0
	s_and_saveexec_b64 s[2:3], s[26:27]
	s_cbranch_execz .LBB8_13
; %bb.5:
	v_add_u32_e32 v2, -1, v4
	v_or_b32_e32 v1, 0x200, v0
	v_lshrrev_b32_e32 v3, 1, v2
	v_add_u32_e32 v5, 1, v3
	v_cmp_lt_u32_e32 vcc, 5, v2
	v_mov_b32_e32 v9, 0
	v_pk_mov_b32 v[2:3], v[0:1], v[0:1] op_sel:[0,1]
	s_and_saveexec_b64 s[8:9], vcc
	s_cbranch_execz .LBB8_9
; %bb.6:
	v_and_b32_e32 v6, -4, v5
	v_lshlrev_b32_e32 v7, 2, v0
	s_mov_b32 s33, 0
	s_mov_b64 s[26:27], 0
	v_mov_b32_e32 v8, s29
	v_pk_mov_b32 v[2:3], v[0:1], v[0:1] op_sel:[0,1]
.LBB8_7:                                ; =>This Inner Loop Header: Depth=1
	v_mul_lo_u32 v9, v2, s28
	v_add_u32_e32 v11, 0x400, v2
	v_add_u32_e32 v10, s30, v9
	v_mul_lo_u32 v1, v3, s28
	v_mul_lo_u32 v9, v11, s28
	v_ashrrev_i32_e32 v11, 31, v10
	v_add_u32_e32 v13, 0x400, v3
	v_add_u32_e32 v12, s30, v1
	v_lshlrev_b64 v[10:11], 2, v[10:11]
	v_add_u32_e32 v14, 0x800, v2
	v_add_u32_e32 v15, 0x800, v3
	v_mul_lo_u32 v1, v13, s28
	v_ashrrev_i32_e32 v13, 31, v12
	v_add_co_u32_e32 v10, vcc, s17, v10
	v_mul_lo_u32 v15, v15, s28
	v_mul_lo_u32 v18, v14, s28
	v_add_u32_e32 v14, s30, v9
	v_lshlrev_b64 v[12:13], 2, v[12:13]
	v_addc_co_u32_e32 v11, vcc, v8, v11, vcc
	v_add_u32_e32 v16, 0xc00, v2
	v_add_u32_e32 v17, 0xc00, v3
	;; [unrolled: 1-line block ×3, first 2 shown]
	v_ashrrev_i32_e32 v15, 31, v14
	v_add_co_u32_e32 v12, vcc, s17, v12
	v_mul_lo_u32 v17, v17, s28
	v_mul_lo_u32 v19, v16, s28
	v_add_u32_e32 v16, s30, v1
	v_addc_co_u32_e32 v13, vcc, v8, v13, vcc
	v_lshlrev_b64 v[14:15], 2, v[14:15]
	v_add_u32_e32 v24, s30, v17
	v_ashrrev_i32_e32 v17, 31, v16
	v_add_co_u32_e32 v14, vcc, s17, v14
	v_add_u32_e32 v18, s30, v18
	v_lshlrev_b64 v[16:17], 2, v[16:17]
	v_addc_co_u32_e32 v15, vcc, v8, v15, vcc
	v_add_u32_e32 v22, s30, v19
	v_ashrrev_i32_e32 v19, 31, v18
	v_add_co_u32_e32 v16, vcc, s17, v16
	v_lshlrev_b64 v[18:19], 2, v[18:19]
	v_addc_co_u32_e32 v17, vcc, v8, v17, vcc
	v_ashrrev_i32_e32 v21, 31, v20
	v_add_co_u32_e32 v18, vcc, s17, v18
	v_lshlrev_b64 v[20:21], 2, v[20:21]
	v_addc_co_u32_e32 v19, vcc, v8, v19, vcc
	;; [unrolled: 4-line block ×4, first 2 shown]
	v_add_co_u32_e32 v24, vcc, s17, v24
	v_addc_co_u32_e32 v25, vcc, v8, v25, vcc
	global_load_dword v1, v[10:11], off
	global_load_dword v26, v[12:13], off
	;; [unrolled: 1-line block ×8, first 2 shown]
	v_add_u32_e32 v6, -4, v6
	s_add_i32 s33, s33, 8
	v_cmp_eq_u32_e32 vcc, 0, v6
	v_add_u32_e32 v3, 0x1000, v3
	v_add_u32_e32 v2, 0x1000, v2
	v_mov_b32_e32 v9, s33
	s_or_b64 s[26:27], vcc, s[26:27]
	s_waitcnt vmcnt(6)
	ds_write2st64_b32 v7, v1, v26 offset1:8
	s_waitcnt vmcnt(4)
	ds_write2st64_b32 v7, v27, v28 offset0:16 offset1:24
	s_waitcnt vmcnt(2)
	ds_write2st64_b32 v7, v29, v30 offset0:32 offset1:40
	;; [unrolled: 2-line block ×3, first 2 shown]
	v_add_u32_e32 v7, 0x4000, v7
	s_andn2_b64 exec, exec, s[26:27]
	s_cbranch_execnz .LBB8_7
; %bb.8:
	s_or_b64 exec, exec, s[26:27]
.LBB8_9:
	s_or_b64 exec, exec, s[8:9]
	v_and_b32_e32 v1, 3, v5
	v_cmp_ne_u32_e32 vcc, 0, v1
	s_and_saveexec_b64 s[8:9], vcc
	s_cbranch_execz .LBB8_12
; %bb.10:
	v_lshlrev_b32_e32 v5, 2, v0
	v_lshl_or_b32 v5, v9, 11, v5
	s_mov_b64 s[26:27], 0
	v_mov_b32_e32 v6, s29
.LBB8_11:                               ; =>This Inner Loop Header: Depth=1
	v_mul_lo_u32 v8, v2, s28
	v_add_u32_e32 v8, s30, v8
	v_mul_lo_u32 v7, v3, s28
	v_ashrrev_i32_e32 v9, 31, v8
	v_add_u32_e32 v10, s30, v7
	v_lshlrev_b64 v[8:9], 2, v[8:9]
	v_ashrrev_i32_e32 v11, 31, v10
	v_add_co_u32_e32 v8, vcc, s17, v8
	v_lshlrev_b64 v[10:11], 2, v[10:11]
	v_addc_co_u32_e32 v9, vcc, v6, v9, vcc
	v_add_co_u32_e32 v10, vcc, s17, v10
	v_addc_co_u32_e32 v11, vcc, v6, v11, vcc
	global_load_dword v7, v[8:9], off
	global_load_dword v12, v[10:11], off
	v_add_u32_e32 v1, -1, v1
	v_cmp_eq_u32_e32 vcc, 0, v1
	v_add_u32_e32 v3, 0x400, v3
	v_add_u32_e32 v2, 0x400, v2
	s_or_b64 s[26:27], vcc, s[26:27]
	s_waitcnt vmcnt(0)
	ds_write2st64_b32 v5, v7, v12 offset1:8
	v_add_u32_e32 v5, 0x1000, v5
	s_andn2_b64 exec, exec, s[26:27]
	s_cbranch_execnz .LBB8_11
.LBB8_12:
	s_or_b64 exec, exec, s[8:9]
	v_add_u32_e32 v2, 1, v4
	v_and_b32_e32 v3, 0xfffffe, v2
	v_cmp_ne_u32_e32 vcc, v2, v3
	v_lshl_or_b32 v1, v3, 9, v0
	s_orn2_b64 s[8:9], vcc, exec
.LBB8_13:
	s_or_b64 exec, exec, s[2:3]
	s_and_b64 s[2:3], s[8:9], exec
	s_or_saveexec_b64 s[8:9], s[24:25]
	v_mov_b32_e32 v4, s31
	s_xor_b64 exec, exec, s[8:9]
	s_cbranch_execz .LBB8_3
.LBB8_14:
	s_lshl_b32 s24, s28, 9
	v_mov_b32_e32 v4, s24
	s_or_b64 s[2:3], s[2:3], exec
	v_mov_b32_e32 v1, v0
	s_or_b64 exec, exec, s[8:9]
	s_and_b64 exec, exec, s[2:3]
	s_cbranch_execz .LBB8_17
.LBB8_15:
	v_mul_lo_u32 v2, v1, s28
	v_add_u32_e32 v2, s30, v2
	v_lshlrev_b32_e32 v5, 2, v1
	s_mov_b64 s[2:3], 0
	v_mov_b32_e32 v6, s29
.LBB8_16:                               ; =>This Inner Loop Header: Depth=1
	v_ashrrev_i32_e32 v3, 31, v2
	v_lshlrev_b64 v[8:9], 2, v[2:3]
	v_add_co_u32_e32 v8, vcc, s17, v8
	v_addc_co_u32_e32 v9, vcc, v6, v9, vcc
	global_load_dword v3, v[8:9], off
	v_add_u32_e32 v1, 0x200, v1
	v_cmp_le_i32_e32 vcc, s19, v1
	v_add_u32_e32 v2, v2, v4
	s_or_b64 s[2:3], vcc, s[2:3]
	s_waitcnt vmcnt(0)
	ds_write_b32 v5, v3
	v_add_u32_e32 v5, 0x800, v5
	s_andn2_b64 exec, exec, s[2:3]
	s_cbranch_execnz .LBB8_16
.LBB8_17:
	s_or_b64 exec, exec, s[22:23]
	s_cmp_ge_i32 s16, s18
	s_waitcnt lgkmcnt(0)
	s_barrier
	s_cbranch_scc1 .LBB8_37
; %bb.18:
	s_load_dwordx2 s[2:3], s[4:5], 0x50
	s_load_dword s17, s[4:5], 0x48
	v_mbcnt_lo_u32_b32 v2, -1, 0
	v_and_b32_e32 v1, 63, v0
	v_mbcnt_hi_u32_b32 v10, -1, v2
	s_waitcnt lgkmcnt(0)
	s_mul_i32 s3, s6, s3
	s_mul_hi_u32 s4, s6, s2
	s_mul_i32 s5, s7, s2
	s_add_i32 s3, s4, s3
	s_mul_i32 s2, s6, s2
	s_add_i32 s3, s3, s5
	s_lshl_b64 s[2:3], s[2:3], 2
	s_add_u32 s4, s14, s2
	s_addc_u32 s5, s15, s3
	s_lshl_b64 s[2:3], s[20:21], 2
	s_add_u32 s20, s4, s2
	s_addc_u32 s21, s5, s3
	s_mul_i32 s2, s6, s13
	s_mul_hi_u32 s3, s6, s12
	s_add_i32 s2, s3, s2
	s_mul_i32 s3, s7, s12
	s_add_i32 s3, s2, s3
	s_mul_i32 s2, s6, s12
	s_lshl_b64 s[2:3], s[2:3], 2
	s_add_u32 s6, s10, s2
	s_addc_u32 s7, s11, s3
	s_cmp_gt_i32 s19, 1
	s_cselect_b64 s[8:9], -1, 0
	v_cmp_eq_u32_e64 s[2:3], 0, v1
	v_lshrrev_b32_e32 v1, 4, v0
	v_cmp_eq_u32_e64 s[4:5], 0, v0
	v_lshlrev_b32_e32 v4, 2, v0
	v_mul_lo_u32 v5, v0, s17
	s_lshl_b32 s22, s17, 9
	v_mov_b32_e32 v6, 0x2004
	v_mov_b32_e32 v7, 0x200c
	;; [unrolled: 1-line block ×4, first 2 shown]
	v_and_b32_e32 v11, 63, v10
	s_branch .LBB8_20
.LBB8_19:                               ;   in Loop: Header=BB8_20 Depth=1
	s_or_b64 exec, exec, s[10:11]
	s_add_i32 s16, s16, 64
	s_cmp_ge_i32 s16, s18
	s_cbranch_scc1 .LBB8_37
.LBB8_20:                               ; =>This Loop Header: Depth=1
                                        ;     Child Loop BB8_22 Depth 2
                                        ;     Child Loop BB8_36 Depth 2
	s_ashr_i32 s17, s16, 31
	s_lshl_b64 s[10:11], s[16:17], 2
	s_add_u32 s17, s20, s10
	s_addc_u32 s23, s21, s11
	v_mov_b32_e32 v12, 0
	s_and_saveexec_b64 s[10:11], s[0:1]
	s_cbranch_execz .LBB8_24
; %bb.21:                               ;   in Loop: Header=BB8_20 Depth=1
	s_mov_b64 s[12:13], 0
	v_mov_b32_e32 v12, 0
	v_mov_b32_e32 v13, s23
	;; [unrolled: 1-line block ×5, first 2 shown]
.LBB8_22:                               ;   Parent Loop BB8_20 Depth=1
                                        ; =>  This Inner Loop Header: Depth=2
	v_ashrrev_i32_e32 v3, 31, v2
	v_lshlrev_b64 v[16:17], 2, v[2:3]
	v_add_co_u32_e32 v16, vcc, s17, v16
	v_addc_co_u32_e32 v17, vcc, v13, v17, vcc
	global_load_dword v3, v[16:17], off
	ds_read_b32 v16, v14
	v_add_u32_e32 v15, 0x200, v15
	v_cmp_le_i32_e32 vcc, s19, v15
	v_add_u32_e32 v14, 0x800, v14
	v_add_u32_e32 v2, s22, v2
	s_or_b64 s[12:13], vcc, s[12:13]
	s_waitcnt vmcnt(0) lgkmcnt(0)
	v_mul_f32_e32 v3, v16, v3
	v_add_f32_e32 v12, v12, v3
	s_andn2_b64 exec, exec, s[12:13]
	s_cbranch_execnz .LBB8_22
; %bb.23:                               ;   in Loop: Header=BB8_20 Depth=1
	s_or_b64 exec, exec, s[12:13]
.LBB8_24:                               ;   in Loop: Header=BB8_20 Depth=1
	s_or_b64 exec, exec, s[10:11]
	s_and_b64 vcc, exec, s[8:9]
	s_cbranch_vccz .LBB8_31
; %bb.25:                               ;   in Loop: Header=BB8_20 Depth=1
	v_cmp_ne_u32_e32 vcc, 63, v11
	v_addc_co_u32_e32 v2, vcc, 0, v10, vcc
	v_lshlrev_b32_e32 v2, 2, v2
	ds_bpermute_b32 v2, v2, v12
	v_cmp_gt_u32_e32 vcc, 62, v11
	v_cndmask_b32_e64 v3, 0, 1, vcc
	v_lshlrev_b32_e32 v3, 1, v3
	v_add_lshl_u32 v3, v3, v10, 2
	s_waitcnt lgkmcnt(0)
	v_add_f32_e32 v2, v12, v2
	ds_bpermute_b32 v3, v3, v2
	v_cmp_gt_u32_e32 vcc, 60, v11
	v_cndmask_b32_e64 v13, 0, 1, vcc
	v_cmp_gt_u32_e32 vcc, 56, v11
	s_waitcnt lgkmcnt(0)
	v_add_f32_e32 v2, v2, v3
	v_lshlrev_b32_e32 v3, 2, v13
	v_add_lshl_u32 v3, v3, v10, 2
	ds_bpermute_b32 v3, v3, v2
	v_cndmask_b32_e64 v13, 0, 1, vcc
	v_cmp_gt_u32_e32 vcc, 48, v11
	s_waitcnt lgkmcnt(0)
	v_add_f32_e32 v2, v2, v3
	v_lshlrev_b32_e32 v3, 3, v13
	v_add_lshl_u32 v3, v3, v10, 2
	ds_bpermute_b32 v3, v3, v2
	;; [unrolled: 7-line block ×3, first 2 shown]
	v_cndmask_b32_e64 v13, 0, 1, vcc
	s_waitcnt lgkmcnt(0)
	v_add_f32_e32 v2, v2, v3
	v_lshlrev_b32_e32 v3, 5, v13
	v_add_lshl_u32 v3, v3, v10, 2
	ds_bpermute_b32 v3, v3, v2
	s_waitcnt lgkmcnt(0)
	v_add_f32_e32 v2, v2, v3
	s_and_saveexec_b64 s[10:11], s[2:3]
	s_cbranch_execz .LBB8_27
; %bb.26:                               ;   in Loop: Header=BB8_20 Depth=1
	ds_write_b32 v1, v2 offset:8192
.LBB8_27:                               ;   in Loop: Header=BB8_20 Depth=1
	s_or_b64 exec, exec, s[10:11]
	s_mov_b64 s[12:13], 0
	s_mov_b64 s[10:11], 0
	s_waitcnt lgkmcnt(0)
	s_barrier
	s_waitcnt lgkmcnt(0)
                                        ; implicit-def: $vgpr3
	s_and_saveexec_b64 s[14:15], s[4:5]
	s_xor_b64 s[14:15], exec, s[14:15]
	s_cbranch_execz .LBB8_29
; %bb.28:                               ;   in Loop: Header=BB8_20 Depth=1
	ds_read2_b32 v[14:15], v6 offset1:1
	ds_read2_b32 v[16:17], v7 offset1:1
	;; [unrolled: 1-line block ×3, first 2 shown]
	ds_read_b32 v3, v9 offset:8220
	s_mov_b64 s[10:11], exec
	s_waitcnt lgkmcnt(3)
	v_add_f32_e32 v2, v2, v14
	v_add_f32_e32 v2, v2, v15
	s_waitcnt lgkmcnt(2)
	v_add_f32_e32 v2, v2, v16
	v_add_f32_e32 v2, v2, v17
	;; [unrolled: 3-line block ×3, first 2 shown]
	s_waitcnt lgkmcnt(0)
	v_add_f32_e32 v3, v2, v3
.LBB8_29:                               ;   in Loop: Header=BB8_20 Depth=1
	s_or_b64 exec, exec, s[14:15]
	s_and_b64 vcc, exec, s[12:13]
	s_cbranch_vccnz .LBB8_32
.LBB8_30:                               ;   in Loop: Header=BB8_20 Depth=1
	v_mov_b32_e32 v12, v3
	s_and_saveexec_b64 s[12:13], s[10:11]
	s_cbranch_execnz .LBB8_33
	s_branch .LBB8_34
.LBB8_31:                               ;   in Loop: Header=BB8_20 Depth=1
	s_mov_b64 s[10:11], 0
                                        ; implicit-def: $vgpr3
	s_cbranch_execz .LBB8_30
.LBB8_32:                               ;   in Loop: Header=BB8_20 Depth=1
	s_andn2_b64 s[10:11], s[10:11], exec
	s_and_b64 s[12:13], s[4:5], exec
	s_or_b64 s[10:11], s[10:11], s[12:13]
	s_and_saveexec_b64 s[12:13], s[10:11]
	s_cbranch_execz .LBB8_34
.LBB8_33:                               ;   in Loop: Header=BB8_20 Depth=1
	ds_write_b32 v9, v12 offset:8192
.LBB8_34:                               ;   in Loop: Header=BB8_20 Depth=1
	s_or_b64 exec, exec, s[12:13]
	s_waitcnt lgkmcnt(0)
	s_barrier
	s_and_saveexec_b64 s[10:11], s[0:1]
	s_cbranch_execz .LBB8_19
; %bb.35:                               ;   in Loop: Header=BB8_20 Depth=1
	global_load_dword v3, v9, s[6:7]
	ds_read_b32 v14, v9 offset:8192
	s_mov_b64 s[12:13], 0
	v_mov_b32_e32 v12, s23
	v_mov_b32_e32 v13, v4
	;; [unrolled: 1-line block ×4, first 2 shown]
	s_waitcnt vmcnt(0) lgkmcnt(0)
	v_mul_f32_e64 v14, v14, -v3
.LBB8_36:                               ;   Parent Loop BB8_20 Depth=1
                                        ; =>  This Inner Loop Header: Depth=2
	v_ashrrev_i32_e32 v3, 31, v2
	v_lshlrev_b64 v[16:17], 2, v[2:3]
	v_add_co_u32_e32 v16, vcc, s17, v16
	v_addc_co_u32_e32 v17, vcc, v12, v17, vcc
	global_load_dword v3, v[16:17], off
	ds_read_b32 v18, v13
	v_add_u32_e32 v15, 0x200, v15
	v_cmp_le_i32_e32 vcc, s19, v15
	v_add_u32_e32 v13, 0x800, v13
	v_add_u32_e32 v2, s22, v2
	s_or_b64 s[12:13], vcc, s[12:13]
	s_waitcnt vmcnt(0) lgkmcnt(0)
	v_fmac_f32_e32 v3, v14, v18
	global_store_dword v[16:17], v3, off
	s_andn2_b64 exec, exec, s[12:13]
	s_cbranch_execnz .LBB8_36
	s_branch .LBB8_19
.LBB8_37:
	s_endpgm
	.section	.rodata,"a",@progbits
	.p2align	6, 0x0
	.amdhsa_kernel _ZN9rocsolver6v33100L23larf_right_kernel_smallILi512EfiPfEEvT1_S3_T2_lS3_lPKT0_lS4_lS3_l
		.amdhsa_group_segment_fixed_size 8224
		.amdhsa_private_segment_fixed_size 0
		.amdhsa_kernarg_size 88
		.amdhsa_user_sgpr_count 6
		.amdhsa_user_sgpr_private_segment_buffer 1
		.amdhsa_user_sgpr_dispatch_ptr 0
		.amdhsa_user_sgpr_queue_ptr 0
		.amdhsa_user_sgpr_kernarg_segment_ptr 1
		.amdhsa_user_sgpr_dispatch_id 0
		.amdhsa_user_sgpr_flat_scratch_init 0
		.amdhsa_user_sgpr_kernarg_preload_length 0
		.amdhsa_user_sgpr_kernarg_preload_offset 0
		.amdhsa_user_sgpr_private_segment_size 0
		.amdhsa_uses_dynamic_stack 0
		.amdhsa_system_sgpr_private_segment_wavefront_offset 0
		.amdhsa_system_sgpr_workgroup_id_x 1
		.amdhsa_system_sgpr_workgroup_id_y 1
		.amdhsa_system_sgpr_workgroup_id_z 0
		.amdhsa_system_sgpr_workgroup_info 0
		.amdhsa_system_vgpr_workitem_id 0
		.amdhsa_next_free_vgpr 33
		.amdhsa_next_free_sgpr 34
		.amdhsa_accum_offset 36
		.amdhsa_reserve_vcc 1
		.amdhsa_reserve_flat_scratch 0
		.amdhsa_float_round_mode_32 0
		.amdhsa_float_round_mode_16_64 0
		.amdhsa_float_denorm_mode_32 3
		.amdhsa_float_denorm_mode_16_64 3
		.amdhsa_dx10_clamp 1
		.amdhsa_ieee_mode 1
		.amdhsa_fp16_overflow 0
		.amdhsa_tg_split 0
		.amdhsa_exception_fp_ieee_invalid_op 0
		.amdhsa_exception_fp_denorm_src 0
		.amdhsa_exception_fp_ieee_div_zero 0
		.amdhsa_exception_fp_ieee_overflow 0
		.amdhsa_exception_fp_ieee_underflow 0
		.amdhsa_exception_fp_ieee_inexact 0
		.amdhsa_exception_int_div_zero 0
	.end_amdhsa_kernel
	.section	.text._ZN9rocsolver6v33100L23larf_right_kernel_smallILi512EfiPfEEvT1_S3_T2_lS3_lPKT0_lS4_lS3_l,"axG",@progbits,_ZN9rocsolver6v33100L23larf_right_kernel_smallILi512EfiPfEEvT1_S3_T2_lS3_lPKT0_lS4_lS3_l,comdat
.Lfunc_end8:
	.size	_ZN9rocsolver6v33100L23larf_right_kernel_smallILi512EfiPfEEvT1_S3_T2_lS3_lPKT0_lS4_lS3_l, .Lfunc_end8-_ZN9rocsolver6v33100L23larf_right_kernel_smallILi512EfiPfEEvT1_S3_T2_lS3_lPKT0_lS4_lS3_l
                                        ; -- End function
	.section	.AMDGPU.csdata,"",@progbits
; Kernel info:
; codeLenInByte = 2224
; NumSgprs: 38
; NumVgprs: 33
; NumAgprs: 0
; TotalNumVgprs: 33
; ScratchSize: 0
; MemoryBound: 0
; FloatMode: 240
; IeeeMode: 1
; LDSByteSize: 8224 bytes/workgroup (compile time only)
; SGPRBlocks: 4
; VGPRBlocks: 4
; NumSGPRsForWavesPerEU: 38
; NumVGPRsForWavesPerEU: 33
; AccumOffset: 36
; Occupancy: 8
; WaveLimiterHint : 0
; COMPUTE_PGM_RSRC2:SCRATCH_EN: 0
; COMPUTE_PGM_RSRC2:USER_SGPR: 6
; COMPUTE_PGM_RSRC2:TRAP_HANDLER: 0
; COMPUTE_PGM_RSRC2:TGID_X_EN: 1
; COMPUTE_PGM_RSRC2:TGID_Y_EN: 1
; COMPUTE_PGM_RSRC2:TGID_Z_EN: 0
; COMPUTE_PGM_RSRC2:TIDIG_COMP_CNT: 0
; COMPUTE_PGM_RSRC3_GFX90A:ACCUM_OFFSET: 8
; COMPUTE_PGM_RSRC3_GFX90A:TG_SPLIT: 0
	.section	.text._ZN9rocsolver6v33100L23larf_right_kernel_smallILi1024EfiPfEEvT1_S3_T2_lS3_lPKT0_lS4_lS3_l,"axG",@progbits,_ZN9rocsolver6v33100L23larf_right_kernel_smallILi1024EfiPfEEvT1_S3_T2_lS3_lPKT0_lS4_lS3_l,comdat
	.globl	_ZN9rocsolver6v33100L23larf_right_kernel_smallILi1024EfiPfEEvT1_S3_T2_lS3_lPKT0_lS4_lS3_l ; -- Begin function _ZN9rocsolver6v33100L23larf_right_kernel_smallILi1024EfiPfEEvT1_S3_T2_lS3_lPKT0_lS4_lS3_l
	.p2align	8
	.type	_ZN9rocsolver6v33100L23larf_right_kernel_smallILi1024EfiPfEEvT1_S3_T2_lS3_lPKT0_lS4_lS3_l,@function
_ZN9rocsolver6v33100L23larf_right_kernel_smallILi1024EfiPfEEvT1_S3_T2_lS3_lPKT0_lS4_lS3_l: ; @_ZN9rocsolver6v33100L23larf_right_kernel_smallILi1024EfiPfEEvT1_S3_T2_lS3_lPKT0_lS4_lS3_l
; %bb.0:
	s_load_dwordx2 s[18:19], s[4:5], 0x0
	s_load_dwordx8 s[8:15], s[4:5], 0x20
	s_load_dwordx2 s[20:21], s[4:5], 0x40
	s_mov_b32 s16, s7
	s_ashr_i32 s7, s6, 31
	s_waitcnt lgkmcnt(0)
	v_cmp_gt_i32_e64 s[0:1], s19, v0
	s_and_saveexec_b64 s[22:23], s[0:1]
	s_cbranch_execz .LBB9_17
; %bb.1:
	s_load_dwordx4 s[24:27], s[4:5], 0x8
	s_load_dword s28, s[4:5], 0x18
	s_mul_i32 s2, s6, s9
	s_mul_hi_u32 s3, s6, s8
	s_add_i32 s2, s3, s2
	s_mul_i32 s3, s7, s8
	s_add_i32 s3, s2, s3
	s_mul_i32 s2, s6, s8
	s_lshl_b64 s[2:3], s[2:3], 2
	s_waitcnt lgkmcnt(0)
	s_add_u32 s8, s24, s2
	s_addc_u32 s9, s25, s3
	s_lshl_b64 s[2:3], s[26:27], 2
	s_add_u32 s17, s8, s2
	s_addc_u32 s29, s9, s3
	s_sub_i32 s2, 1, s19
	s_mul_i32 s2, s2, s28
	s_cmp_lt_i32 s28, 1
	s_cselect_b32 s30, s2, 0
	v_xad_u32 v2, v0, -1, s19
	s_movk_i32 s2, 0x5bff
	v_cmp_lt_u32_e32 vcc, s2, v2
	s_mov_b64 s[2:3], 0
                                        ; implicit-def: $vgpr1
                                        ; implicit-def: $sgpr31
	s_and_saveexec_b64 s[8:9], vcc
	s_xor_b64 s[24:25], exec, s[8:9]
	s_cbranch_execnz .LBB9_4
; %bb.2:
	s_or_saveexec_b64 s[8:9], s[24:25]
	v_mov_b32_e32 v4, s31
	s_xor_b64 exec, exec, s[8:9]
	s_cbranch_execnz .LBB9_14
.LBB9_3:
	s_or_b64 exec, exec, s[8:9]
	s_and_b64 exec, exec, s[2:3]
	s_cbranch_execnz .LBB9_15
	s_branch .LBB9_17
.LBB9_4:
	s_lshl_b32 s31, s28, 10
	s_sub_i32 s8, 0, s31
	s_cmp_lt_i32 s31, 0
	s_cselect_b64 vcc, -1, 0
	s_and_b64 s[2:3], vcc, exec
	v_lshrrev_b32_e32 v4, 10, v2
	s_cselect_b32 s8, s8, s31
	v_mul_lo_u32 v1, v0, s28
	v_mul_hi_u32 v2, s8, v4
	v_add_u32_e32 v1, s30, v1
	v_cmp_eq_u32_e64 s[2:3], 0, v2
	v_mul_lo_u32 v2, s8, v4
	v_add_u32_e32 v3, v1, v2
	v_sub_u32_e32 v2, v1, v2
	v_cmp_gt_i32_e64 s[8:9], v2, v1
	v_cndmask_b32_e64 v2, 0, 1, s[8:9]
	v_cmp_lt_i32_e64 s[8:9], v3, v1
	v_cndmask_b32_e64 v1, 0, 1, s[8:9]
	v_cndmask_b32_e32 v1, v1, v2, vcc
	v_and_b32_e32 v1, 1, v1
	v_cmp_eq_u32_e32 vcc, 1, v1
	s_xor_b64 s[26:27], vcc, -1
	s_mov_b64 s[8:9], -1
	s_and_b64 s[26:27], s[26:27], s[2:3]
	v_mov_b32_e32 v1, v0
	s_and_saveexec_b64 s[2:3], s[26:27]
	s_cbranch_execz .LBB9_13
; %bb.5:
	v_add_u32_e32 v2, -1, v4
	v_or_b32_e32 v1, 0x400, v0
	v_lshrrev_b32_e32 v3, 1, v2
	v_add_u32_e32 v5, 1, v3
	v_cmp_lt_u32_e32 vcc, 5, v2
	v_mov_b32_e32 v9, 0
	v_pk_mov_b32 v[2:3], v[0:1], v[0:1] op_sel:[0,1]
	s_and_saveexec_b64 s[8:9], vcc
	s_cbranch_execz .LBB9_9
; %bb.6:
	v_and_b32_e32 v6, -4, v5
	v_lshlrev_b32_e32 v7, 2, v0
	s_mov_b32 s33, 0
	s_mov_b64 s[26:27], 0
	v_mov_b32_e32 v8, s29
	v_pk_mov_b32 v[2:3], v[0:1], v[0:1] op_sel:[0,1]
.LBB9_7:                                ; =>This Inner Loop Header: Depth=1
	v_mul_lo_u32 v9, v2, s28
	v_add_u32_e32 v11, 0x800, v2
	v_add_u32_e32 v10, s30, v9
	v_mul_lo_u32 v1, v3, s28
	v_mul_lo_u32 v9, v11, s28
	v_ashrrev_i32_e32 v11, 31, v10
	v_add_u32_e32 v13, 0x800, v3
	v_add_u32_e32 v12, s30, v1
	v_lshlrev_b64 v[10:11], 2, v[10:11]
	v_add_u32_e32 v14, 0x1000, v2
	v_add_u32_e32 v15, 0x1000, v3
	v_mul_lo_u32 v1, v13, s28
	v_ashrrev_i32_e32 v13, 31, v12
	v_add_co_u32_e32 v10, vcc, s17, v10
	v_mul_lo_u32 v15, v15, s28
	v_mul_lo_u32 v18, v14, s28
	v_add_u32_e32 v14, s30, v9
	v_lshlrev_b64 v[12:13], 2, v[12:13]
	v_addc_co_u32_e32 v11, vcc, v8, v11, vcc
	v_add_u32_e32 v16, 0x1800, v2
	v_add_u32_e32 v17, 0x1800, v3
	;; [unrolled: 1-line block ×3, first 2 shown]
	v_ashrrev_i32_e32 v15, 31, v14
	v_add_co_u32_e32 v12, vcc, s17, v12
	v_mul_lo_u32 v17, v17, s28
	v_mul_lo_u32 v19, v16, s28
	v_add_u32_e32 v16, s30, v1
	v_addc_co_u32_e32 v13, vcc, v8, v13, vcc
	v_lshlrev_b64 v[14:15], 2, v[14:15]
	v_add_u32_e32 v24, s30, v17
	v_ashrrev_i32_e32 v17, 31, v16
	v_add_co_u32_e32 v14, vcc, s17, v14
	v_add_u32_e32 v18, s30, v18
	v_lshlrev_b64 v[16:17], 2, v[16:17]
	v_addc_co_u32_e32 v15, vcc, v8, v15, vcc
	v_add_u32_e32 v22, s30, v19
	v_ashrrev_i32_e32 v19, 31, v18
	v_add_co_u32_e32 v16, vcc, s17, v16
	v_lshlrev_b64 v[18:19], 2, v[18:19]
	v_addc_co_u32_e32 v17, vcc, v8, v17, vcc
	v_ashrrev_i32_e32 v21, 31, v20
	v_add_co_u32_e32 v18, vcc, s17, v18
	v_lshlrev_b64 v[20:21], 2, v[20:21]
	v_addc_co_u32_e32 v19, vcc, v8, v19, vcc
	;; [unrolled: 4-line block ×4, first 2 shown]
	v_add_co_u32_e32 v24, vcc, s17, v24
	v_addc_co_u32_e32 v25, vcc, v8, v25, vcc
	global_load_dword v1, v[10:11], off
	global_load_dword v26, v[12:13], off
	;; [unrolled: 1-line block ×8, first 2 shown]
	v_add_u32_e32 v6, -4, v6
	s_add_i32 s33, s33, 8
	v_cmp_eq_u32_e32 vcc, 0, v6
	v_add_u32_e32 v3, 0x2000, v3
	v_add_u32_e32 v2, 0x2000, v2
	v_mov_b32_e32 v9, s33
	s_or_b64 s[26:27], vcc, s[26:27]
	s_waitcnt vmcnt(6)
	ds_write2st64_b32 v7, v1, v26 offset1:16
	s_waitcnt vmcnt(4)
	ds_write2st64_b32 v7, v27, v28 offset0:32 offset1:48
	s_waitcnt vmcnt(2)
	ds_write2st64_b32 v7, v29, v30 offset0:64 offset1:80
	;; [unrolled: 2-line block ×3, first 2 shown]
	v_add_u32_e32 v7, 0x8000, v7
	s_andn2_b64 exec, exec, s[26:27]
	s_cbranch_execnz .LBB9_7
; %bb.8:
	s_or_b64 exec, exec, s[26:27]
.LBB9_9:
	s_or_b64 exec, exec, s[8:9]
	v_and_b32_e32 v1, 3, v5
	v_cmp_ne_u32_e32 vcc, 0, v1
	s_and_saveexec_b64 s[8:9], vcc
	s_cbranch_execz .LBB9_12
; %bb.10:
	v_lshlrev_b32_e32 v5, 2, v0
	v_lshl_or_b32 v5, v9, 12, v5
	s_mov_b64 s[26:27], 0
	v_mov_b32_e32 v6, s29
.LBB9_11:                               ; =>This Inner Loop Header: Depth=1
	v_mul_lo_u32 v8, v2, s28
	v_add_u32_e32 v8, s30, v8
	v_mul_lo_u32 v7, v3, s28
	v_ashrrev_i32_e32 v9, 31, v8
	v_add_u32_e32 v10, s30, v7
	v_lshlrev_b64 v[8:9], 2, v[8:9]
	v_ashrrev_i32_e32 v11, 31, v10
	v_add_co_u32_e32 v8, vcc, s17, v8
	v_lshlrev_b64 v[10:11], 2, v[10:11]
	v_addc_co_u32_e32 v9, vcc, v6, v9, vcc
	v_add_co_u32_e32 v10, vcc, s17, v10
	v_addc_co_u32_e32 v11, vcc, v6, v11, vcc
	global_load_dword v7, v[8:9], off
	global_load_dword v12, v[10:11], off
	v_add_u32_e32 v1, -1, v1
	v_cmp_eq_u32_e32 vcc, 0, v1
	v_add_u32_e32 v3, 0x800, v3
	v_add_u32_e32 v2, 0x800, v2
	s_or_b64 s[26:27], vcc, s[26:27]
	s_waitcnt vmcnt(0)
	ds_write2st64_b32 v5, v7, v12 offset1:16
	v_add_u32_e32 v5, 0x2000, v5
	s_andn2_b64 exec, exec, s[26:27]
	s_cbranch_execnz .LBB9_11
.LBB9_12:
	s_or_b64 exec, exec, s[8:9]
	v_add_u32_e32 v2, 1, v4
	v_and_b32_e32 v3, 0x7ffffe, v2
	v_cmp_ne_u32_e32 vcc, v2, v3
	v_lshl_or_b32 v1, v3, 10, v0
	s_orn2_b64 s[8:9], vcc, exec
.LBB9_13:
	s_or_b64 exec, exec, s[2:3]
	s_and_b64 s[2:3], s[8:9], exec
	s_or_saveexec_b64 s[8:9], s[24:25]
	v_mov_b32_e32 v4, s31
	s_xor_b64 exec, exec, s[8:9]
	s_cbranch_execz .LBB9_3
.LBB9_14:
	s_lshl_b32 s24, s28, 10
	v_mov_b32_e32 v4, s24
	s_or_b64 s[2:3], s[2:3], exec
	v_mov_b32_e32 v1, v0
	s_or_b64 exec, exec, s[8:9]
	s_and_b64 exec, exec, s[2:3]
	s_cbranch_execz .LBB9_17
.LBB9_15:
	v_mul_lo_u32 v2, v1, s28
	v_add_u32_e32 v2, s30, v2
	v_lshlrev_b32_e32 v5, 2, v1
	s_mov_b64 s[2:3], 0
	v_mov_b32_e32 v6, s29
.LBB9_16:                               ; =>This Inner Loop Header: Depth=1
	v_ashrrev_i32_e32 v3, 31, v2
	v_lshlrev_b64 v[8:9], 2, v[2:3]
	v_add_co_u32_e32 v8, vcc, s17, v8
	v_addc_co_u32_e32 v9, vcc, v6, v9, vcc
	global_load_dword v3, v[8:9], off
	v_add_u32_e32 v1, 0x400, v1
	v_cmp_le_i32_e32 vcc, s19, v1
	v_add_u32_e32 v2, v2, v4
	s_or_b64 s[2:3], vcc, s[2:3]
	s_waitcnt vmcnt(0)
	ds_write_b32 v5, v3
	v_add_u32_e32 v5, 0x1000, v5
	s_andn2_b64 exec, exec, s[2:3]
	s_cbranch_execnz .LBB9_16
.LBB9_17:
	s_or_b64 exec, exec, s[22:23]
	s_cmp_ge_i32 s16, s18
	s_waitcnt lgkmcnt(0)
	s_barrier
	s_cbranch_scc1 .LBB9_37
; %bb.18:
	s_load_dwordx2 s[2:3], s[4:5], 0x50
	s_load_dword s17, s[4:5], 0x48
	v_mbcnt_lo_u32_b32 v2, -1, 0
	v_and_b32_e32 v1, 63, v0
	v_mbcnt_hi_u32_b32 v14, -1, v2
	s_waitcnt lgkmcnt(0)
	s_mul_i32 s3, s6, s3
	s_mul_hi_u32 s4, s6, s2
	s_mul_i32 s5, s7, s2
	s_add_i32 s3, s4, s3
	s_mul_i32 s2, s6, s2
	s_add_i32 s3, s3, s5
	s_lshl_b64 s[2:3], s[2:3], 2
	s_add_u32 s4, s14, s2
	s_addc_u32 s5, s15, s3
	s_lshl_b64 s[2:3], s[20:21], 2
	s_add_u32 s20, s4, s2
	s_addc_u32 s21, s5, s3
	s_mul_i32 s2, s6, s13
	s_mul_hi_u32 s3, s6, s12
	s_add_i32 s2, s3, s2
	s_mul_i32 s3, s7, s12
	s_add_i32 s3, s2, s3
	s_mul_i32 s2, s6, s12
	s_lshl_b64 s[2:3], s[2:3], 2
	s_add_u32 s6, s10, s2
	s_addc_u32 s7, s11, s3
	s_cmp_gt_i32 s19, 1
	s_cselect_b64 s[8:9], -1, 0
	v_cmp_eq_u32_e64 s[2:3], 0, v1
	v_lshrrev_b32_e32 v1, 4, v0
	v_cmp_eq_u32_e64 s[4:5], 0, v0
	v_lshlrev_b32_e32 v4, 2, v0
	v_mul_lo_u32 v5, v0, s17
	s_lshl_b32 s22, s17, 10
	v_mov_b32_e32 v6, 0x2004
	v_mov_b32_e32 v7, 0x200c
	;; [unrolled: 1-line block ×8, first 2 shown]
	v_and_b32_e32 v15, 63, v14
	s_branch .LBB9_20
.LBB9_19:                               ;   in Loop: Header=BB9_20 Depth=1
	s_or_b64 exec, exec, s[10:11]
	s_add_i32 s16, s16, 64
	s_cmp_ge_i32 s16, s18
	s_cbranch_scc1 .LBB9_37
.LBB9_20:                               ; =>This Loop Header: Depth=1
                                        ;     Child Loop BB9_22 Depth 2
                                        ;     Child Loop BB9_36 Depth 2
	s_ashr_i32 s17, s16, 31
	s_lshl_b64 s[10:11], s[16:17], 2
	s_add_u32 s17, s20, s10
	s_addc_u32 s23, s21, s11
	v_mov_b32_e32 v16, 0
	s_and_saveexec_b64 s[10:11], s[0:1]
	s_cbranch_execz .LBB9_24
; %bb.21:                               ;   in Loop: Header=BB9_20 Depth=1
	s_mov_b64 s[12:13], 0
	v_mov_b32_e32 v16, 0
	v_mov_b32_e32 v17, s23
	;; [unrolled: 1-line block ×5, first 2 shown]
.LBB9_22:                               ;   Parent Loop BB9_20 Depth=1
                                        ; =>  This Inner Loop Header: Depth=2
	v_ashrrev_i32_e32 v3, 31, v2
	v_lshlrev_b64 v[20:21], 2, v[2:3]
	v_add_co_u32_e32 v20, vcc, s17, v20
	v_addc_co_u32_e32 v21, vcc, v17, v21, vcc
	global_load_dword v3, v[20:21], off
	ds_read_b32 v20, v18
	v_add_u32_e32 v19, 0x400, v19
	v_cmp_le_i32_e32 vcc, s19, v19
	v_add_u32_e32 v18, 0x1000, v18
	v_add_u32_e32 v2, s22, v2
	s_or_b64 s[12:13], vcc, s[12:13]
	s_waitcnt vmcnt(0) lgkmcnt(0)
	v_mul_f32_e32 v3, v20, v3
	v_add_f32_e32 v16, v16, v3
	s_andn2_b64 exec, exec, s[12:13]
	s_cbranch_execnz .LBB9_22
; %bb.23:                               ;   in Loop: Header=BB9_20 Depth=1
	s_or_b64 exec, exec, s[12:13]
.LBB9_24:                               ;   in Loop: Header=BB9_20 Depth=1
	s_or_b64 exec, exec, s[10:11]
	s_and_b64 vcc, exec, s[8:9]
	s_cbranch_vccz .LBB9_31
; %bb.25:                               ;   in Loop: Header=BB9_20 Depth=1
	v_cmp_ne_u32_e32 vcc, 63, v15
	v_addc_co_u32_e32 v2, vcc, 0, v14, vcc
	v_lshlrev_b32_e32 v2, 2, v2
	ds_bpermute_b32 v2, v2, v16
	v_cmp_gt_u32_e32 vcc, 62, v15
	v_cndmask_b32_e64 v3, 0, 1, vcc
	v_lshlrev_b32_e32 v3, 1, v3
	v_add_lshl_u32 v3, v3, v14, 2
	s_waitcnt lgkmcnt(0)
	v_add_f32_e32 v2, v16, v2
	ds_bpermute_b32 v3, v3, v2
	v_cmp_gt_u32_e32 vcc, 60, v15
	v_cndmask_b32_e64 v17, 0, 1, vcc
	v_cmp_gt_u32_e32 vcc, 56, v15
	s_waitcnt lgkmcnt(0)
	v_add_f32_e32 v2, v2, v3
	v_lshlrev_b32_e32 v3, 2, v17
	v_add_lshl_u32 v3, v3, v14, 2
	ds_bpermute_b32 v3, v3, v2
	v_cndmask_b32_e64 v17, 0, 1, vcc
	v_cmp_gt_u32_e32 vcc, 48, v15
	s_waitcnt lgkmcnt(0)
	v_add_f32_e32 v2, v2, v3
	v_lshlrev_b32_e32 v3, 3, v17
	v_add_lshl_u32 v3, v3, v14, 2
	ds_bpermute_b32 v3, v3, v2
	;; [unrolled: 7-line block ×3, first 2 shown]
	v_cndmask_b32_e64 v17, 0, 1, vcc
	s_waitcnt lgkmcnt(0)
	v_add_f32_e32 v2, v2, v3
	v_lshlrev_b32_e32 v3, 5, v17
	v_add_lshl_u32 v3, v3, v14, 2
	ds_bpermute_b32 v3, v3, v2
	s_waitcnt lgkmcnt(0)
	v_add_f32_e32 v2, v2, v3
	s_and_saveexec_b64 s[10:11], s[2:3]
	s_cbranch_execz .LBB9_27
; %bb.26:                               ;   in Loop: Header=BB9_20 Depth=1
	ds_write_b32 v1, v2 offset:8192
.LBB9_27:                               ;   in Loop: Header=BB9_20 Depth=1
	s_or_b64 exec, exec, s[10:11]
	s_mov_b64 s[12:13], 0
	s_mov_b64 s[10:11], 0
	s_waitcnt lgkmcnt(0)
	s_barrier
	s_waitcnt lgkmcnt(0)
                                        ; implicit-def: $vgpr3
	s_and_saveexec_b64 s[14:15], s[4:5]
	s_xor_b64 s[14:15], exec, s[14:15]
	s_cbranch_execz .LBB9_29
; %bb.28:                               ;   in Loop: Header=BB9_20 Depth=1
	ds_read2_b32 v[18:19], v6 offset1:1
	ds_read2_b32 v[20:21], v7 offset1:1
	;; [unrolled: 1-line block ×4, first 2 shown]
	s_mov_b64 s[10:11], exec
	s_waitcnt lgkmcnt(3)
	v_add_f32_e32 v2, v2, v18
	v_add_f32_e32 v2, v2, v19
	s_waitcnt lgkmcnt(2)
	v_add_f32_e32 v2, v2, v20
	v_add_f32_e32 v2, v2, v21
	s_waitcnt lgkmcnt(1)
	v_add_f32_e32 v2, v2, v22
	v_add_f32_e32 v2, v2, v23
	s_waitcnt lgkmcnt(0)
	v_add_f32_e32 v17, v2, v24
	ds_read2_b32 v[2:3], v10 offset1:1
	v_add_f32_e32 v17, v17, v25
	ds_read2_b32 v[18:19], v11 offset1:1
	ds_read2_b32 v[20:21], v12 offset1:1
	ds_read_b32 v22, v13 offset:8252
	s_waitcnt lgkmcnt(3)
	v_add_f32_e32 v2, v17, v2
	v_add_f32_e32 v2, v2, v3
	s_waitcnt lgkmcnt(2)
	v_add_f32_e32 v2, v2, v18
	v_add_f32_e32 v2, v2, v19
	;; [unrolled: 3-line block ×3, first 2 shown]
	s_waitcnt lgkmcnt(0)
	v_add_f32_e32 v3, v2, v22
.LBB9_29:                               ;   in Loop: Header=BB9_20 Depth=1
	s_or_b64 exec, exec, s[14:15]
	s_and_b64 vcc, exec, s[12:13]
	s_cbranch_vccnz .LBB9_32
.LBB9_30:                               ;   in Loop: Header=BB9_20 Depth=1
	v_mov_b32_e32 v16, v3
	s_and_saveexec_b64 s[12:13], s[10:11]
	s_cbranch_execnz .LBB9_33
	s_branch .LBB9_34
.LBB9_31:                               ;   in Loop: Header=BB9_20 Depth=1
	s_mov_b64 s[10:11], 0
                                        ; implicit-def: $vgpr3
	s_cbranch_execz .LBB9_30
.LBB9_32:                               ;   in Loop: Header=BB9_20 Depth=1
	s_andn2_b64 s[10:11], s[10:11], exec
	s_and_b64 s[12:13], s[4:5], exec
	s_or_b64 s[10:11], s[10:11], s[12:13]
	s_and_saveexec_b64 s[12:13], s[10:11]
	s_cbranch_execz .LBB9_34
.LBB9_33:                               ;   in Loop: Header=BB9_20 Depth=1
	ds_write_b32 v13, v16 offset:8192
.LBB9_34:                               ;   in Loop: Header=BB9_20 Depth=1
	s_or_b64 exec, exec, s[12:13]
	s_waitcnt lgkmcnt(0)
	s_barrier
	s_and_saveexec_b64 s[10:11], s[0:1]
	s_cbranch_execz .LBB9_19
; %bb.35:                               ;   in Loop: Header=BB9_20 Depth=1
	global_load_dword v3, v13, s[6:7]
	ds_read_b32 v18, v13 offset:8192
	s_mov_b64 s[12:13], 0
	v_mov_b32_e32 v16, s23
	v_mov_b32_e32 v17, v4
	;; [unrolled: 1-line block ×4, first 2 shown]
	s_waitcnt vmcnt(0) lgkmcnt(0)
	v_mul_f32_e64 v18, v18, -v3
.LBB9_36:                               ;   Parent Loop BB9_20 Depth=1
                                        ; =>  This Inner Loop Header: Depth=2
	v_ashrrev_i32_e32 v3, 31, v2
	v_lshlrev_b64 v[20:21], 2, v[2:3]
	v_add_co_u32_e32 v20, vcc, s17, v20
	v_addc_co_u32_e32 v21, vcc, v16, v21, vcc
	global_load_dword v3, v[20:21], off
	ds_read_b32 v22, v17
	v_add_u32_e32 v19, 0x400, v19
	v_cmp_le_i32_e32 vcc, s19, v19
	v_add_u32_e32 v17, 0x1000, v17
	v_add_u32_e32 v2, s22, v2
	s_or_b64 s[12:13], vcc, s[12:13]
	s_waitcnt vmcnt(0) lgkmcnt(0)
	v_fmac_f32_e32 v3, v18, v22
	global_store_dword v[20:21], v3, off
	s_andn2_b64 exec, exec, s[12:13]
	s_cbranch_execnz .LBB9_36
	s_branch .LBB9_19
.LBB9_37:
	s_endpgm
	.section	.rodata,"a",@progbits
	.p2align	6, 0x0
	.amdhsa_kernel _ZN9rocsolver6v33100L23larf_right_kernel_smallILi1024EfiPfEEvT1_S3_T2_lS3_lPKT0_lS4_lS3_l
		.amdhsa_group_segment_fixed_size 8256
		.amdhsa_private_segment_fixed_size 0
		.amdhsa_kernarg_size 88
		.amdhsa_user_sgpr_count 6
		.amdhsa_user_sgpr_private_segment_buffer 1
		.amdhsa_user_sgpr_dispatch_ptr 0
		.amdhsa_user_sgpr_queue_ptr 0
		.amdhsa_user_sgpr_kernarg_segment_ptr 1
		.amdhsa_user_sgpr_dispatch_id 0
		.amdhsa_user_sgpr_flat_scratch_init 0
		.amdhsa_user_sgpr_kernarg_preload_length 0
		.amdhsa_user_sgpr_kernarg_preload_offset 0
		.amdhsa_user_sgpr_private_segment_size 0
		.amdhsa_uses_dynamic_stack 0
		.amdhsa_system_sgpr_private_segment_wavefront_offset 0
		.amdhsa_system_sgpr_workgroup_id_x 1
		.amdhsa_system_sgpr_workgroup_id_y 1
		.amdhsa_system_sgpr_workgroup_id_z 0
		.amdhsa_system_sgpr_workgroup_info 0
		.amdhsa_system_vgpr_workitem_id 0
		.amdhsa_next_free_vgpr 33
		.amdhsa_next_free_sgpr 34
		.amdhsa_accum_offset 36
		.amdhsa_reserve_vcc 1
		.amdhsa_reserve_flat_scratch 0
		.amdhsa_float_round_mode_32 0
		.amdhsa_float_round_mode_16_64 0
		.amdhsa_float_denorm_mode_32 3
		.amdhsa_float_denorm_mode_16_64 3
		.amdhsa_dx10_clamp 1
		.amdhsa_ieee_mode 1
		.amdhsa_fp16_overflow 0
		.amdhsa_tg_split 0
		.amdhsa_exception_fp_ieee_invalid_op 0
		.amdhsa_exception_fp_denorm_src 0
		.amdhsa_exception_fp_ieee_div_zero 0
		.amdhsa_exception_fp_ieee_overflow 0
		.amdhsa_exception_fp_ieee_underflow 0
		.amdhsa_exception_fp_ieee_inexact 0
		.amdhsa_exception_int_div_zero 0
	.end_amdhsa_kernel
	.section	.text._ZN9rocsolver6v33100L23larf_right_kernel_smallILi1024EfiPfEEvT1_S3_T2_lS3_lPKT0_lS4_lS3_l,"axG",@progbits,_ZN9rocsolver6v33100L23larf_right_kernel_smallILi1024EfiPfEEvT1_S3_T2_lS3_lPKT0_lS4_lS3_l,comdat
.Lfunc_end9:
	.size	_ZN9rocsolver6v33100L23larf_right_kernel_smallILi1024EfiPfEEvT1_S3_T2_lS3_lPKT0_lS4_lS3_l, .Lfunc_end9-_ZN9rocsolver6v33100L23larf_right_kernel_smallILi1024EfiPfEEvT1_S3_T2_lS3_lPKT0_lS4_lS3_l
                                        ; -- End function
	.section	.AMDGPU.csdata,"",@progbits
; Kernel info:
; codeLenInByte = 2336
; NumSgprs: 38
; NumVgprs: 33
; NumAgprs: 0
; TotalNumVgprs: 33
; ScratchSize: 0
; MemoryBound: 0
; FloatMode: 240
; IeeeMode: 1
; LDSByteSize: 8256 bytes/workgroup (compile time only)
; SGPRBlocks: 4
; VGPRBlocks: 4
; NumSGPRsForWavesPerEU: 38
; NumVGPRsForWavesPerEU: 33
; AccumOffset: 36
; Occupancy: 8
; WaveLimiterHint : 0
; COMPUTE_PGM_RSRC2:SCRATCH_EN: 0
; COMPUTE_PGM_RSRC2:USER_SGPR: 6
; COMPUTE_PGM_RSRC2:TRAP_HANDLER: 0
; COMPUTE_PGM_RSRC2:TGID_X_EN: 1
; COMPUTE_PGM_RSRC2:TGID_Y_EN: 1
; COMPUTE_PGM_RSRC2:TGID_Z_EN: 0
; COMPUTE_PGM_RSRC2:TIDIG_COMP_CNT: 0
; COMPUTE_PGM_RSRC3_GFX90A:ACCUM_OFFSET: 8
; COMPUTE_PGM_RSRC3_GFX90A:TG_SPLIT: 0
	.section	.text._ZN9rocsolver6v33100L22larf_left_kernel_smallILi64EfiPKPfEEvT1_S5_T2_lS5_lPKT0_lS6_lS5_l,"axG",@progbits,_ZN9rocsolver6v33100L22larf_left_kernel_smallILi64EfiPKPfEEvT1_S5_T2_lS5_lPKT0_lS6_lS5_l,comdat
	.globl	_ZN9rocsolver6v33100L22larf_left_kernel_smallILi64EfiPKPfEEvT1_S5_T2_lS5_lPKT0_lS6_lS5_l ; -- Begin function _ZN9rocsolver6v33100L22larf_left_kernel_smallILi64EfiPKPfEEvT1_S5_T2_lS5_lPKT0_lS6_lS5_l
	.p2align	8
	.type	_ZN9rocsolver6v33100L22larf_left_kernel_smallILi64EfiPKPfEEvT1_S5_T2_lS5_lPKT0_lS6_lS5_l,@function
_ZN9rocsolver6v33100L22larf_left_kernel_smallILi64EfiPKPfEEvT1_S5_T2_lS5_lPKT0_lS6_lS5_l: ; @_ZN9rocsolver6v33100L22larf_left_kernel_smallILi64EfiPKPfEEvT1_S5_T2_lS5_lPKT0_lS6_lS5_l
; %bb.0:
	s_load_dwordx8 s[16:23], s[4:5], 0x28
	s_load_dwordx2 s[24:25], s[4:5], 0x0
	s_mov_b32 s14, s7
	s_ashr_i32 s7, s6, 31
	s_lshl_b64 s[2:3], s[6:7], 3
	s_waitcnt lgkmcnt(0)
	s_add_u32 s0, s20, s2
	s_addc_u32 s1, s21, s3
	s_load_dwordx2 s[10:11], s[0:1], 0x0
	v_cmp_gt_i32_e64 s[0:1], s24, v0
	v_xad_u32 v4, v0, -1, s24
	s_and_saveexec_b64 s[12:13], s[0:1]
	s_cbranch_execz .LBB10_17
; %bb.1:
	s_load_dwordx4 s[36:39], s[4:5], 0x8
	s_load_dword s28, s[4:5], 0x18
	s_movk_i32 s8, 0x5bf
	v_cmp_lt_u32_e32 vcc, s8, v4
                                        ; implicit-def: $vgpr1
                                        ; implicit-def: $sgpr31
	s_waitcnt lgkmcnt(0)
	s_add_u32 s2, s36, s2
	s_addc_u32 s3, s37, s3
	s_load_dwordx2 s[2:3], s[2:3], 0x0
	s_lshl_b64 s[8:9], s[38:39], 2
	s_waitcnt lgkmcnt(0)
	s_add_u32 s15, s2, s8
	s_addc_u32 s29, s3, s9
	s_sub_i32 s2, 1, s24
	s_mul_i32 s2, s2, s28
	s_cmp_lt_i32 s28, 1
	s_cselect_b32 s30, s2, 0
	s_mov_b64 s[2:3], 0
	s_and_saveexec_b64 s[8:9], vcc
	s_xor_b64 s[20:21], exec, s[8:9]
	s_cbranch_execnz .LBB10_4
; %bb.2:
	s_or_saveexec_b64 s[8:9], s[20:21]
	v_mov_b32_e32 v5, s31
	s_xor_b64 exec, exec, s[8:9]
	s_cbranch_execnz .LBB10_14
.LBB10_3:
	s_or_b64 exec, exec, s[8:9]
	s_and_b64 exec, exec, s[2:3]
	s_cbranch_execnz .LBB10_15
	s_branch .LBB10_17
.LBB10_4:
	s_lshl_b32 s31, s28, 6
	s_sub_i32 s8, 0, s31
	s_cmp_lt_i32 s31, 0
	s_cselect_b64 vcc, -1, 0
	s_and_b64 s[2:3], vcc, exec
	v_lshrrev_b32_e32 v5, 6, v4
	s_cselect_b32 s8, s8, s31
	v_mul_lo_u32 v1, v0, s28
	v_mul_hi_u32 v2, s8, v5
	v_add_u32_e32 v1, s30, v1
	v_cmp_eq_u32_e64 s[2:3], 0, v2
	v_mul_lo_u32 v2, s8, v5
	v_add_u32_e32 v3, v1, v2
	v_sub_u32_e32 v2, v1, v2
	v_cmp_gt_i32_e64 s[8:9], v2, v1
	v_cndmask_b32_e64 v2, 0, 1, s[8:9]
	v_cmp_lt_i32_e64 s[8:9], v3, v1
	v_cndmask_b32_e64 v1, 0, 1, s[8:9]
	v_cndmask_b32_e32 v1, v1, v2, vcc
	v_and_b32_e32 v1, 1, v1
	v_cmp_eq_u32_e32 vcc, 1, v1
	s_xor_b64 s[26:27], vcc, -1
	s_mov_b64 s[8:9], -1
	s_and_b64 s[26:27], s[26:27], s[2:3]
	v_mov_b32_e32 v1, v0
	s_and_saveexec_b64 s[2:3], s[26:27]
	s_cbranch_execz .LBB10_13
; %bb.5:
	v_add_u32_e32 v2, -1, v5
	v_or_b32_e32 v1, 64, v0
	v_lshrrev_b32_e32 v3, 1, v2
	v_add_u32_e32 v6, 1, v3
	v_cmp_lt_u32_e32 vcc, 5, v2
	v_mov_b32_e32 v10, 0
	v_pk_mov_b32 v[2:3], v[0:1], v[0:1] op_sel:[0,1]
	s_and_saveexec_b64 s[8:9], vcc
	s_cbranch_execz .LBB10_9
; %bb.6:
	v_and_b32_e32 v7, -4, v6
	v_lshlrev_b32_e32 v8, 2, v0
	s_mov_b32 s33, 0
	s_mov_b64 s[26:27], 0
	v_mov_b32_e32 v9, s29
	v_pk_mov_b32 v[2:3], v[0:1], v[0:1] op_sel:[0,1]
.LBB10_7:                               ; =>This Inner Loop Header: Depth=1
	v_mul_lo_u32 v10, v2, s28
	v_add_u32_e32 v11, 0x80, v2
	v_add_u32_e32 v10, s30, v10
	v_mul_lo_u32 v1, v3, s28
	v_mul_lo_u32 v18, v11, s28
	v_ashrrev_i32_e32 v11, 31, v10
	v_add_u32_e32 v13, 0x80, v3
	v_add_u32_e32 v12, s30, v1
	v_lshlrev_b64 v[10:11], 2, v[10:11]
	v_add_u32_e32 v14, 0x100, v2
	v_add_u32_e32 v15, 0x100, v3
	v_mul_lo_u32 v1, v13, s28
	v_ashrrev_i32_e32 v13, 31, v12
	v_add_co_u32_e32 v10, vcc, s15, v10
	v_mul_lo_u32 v15, v15, s28
	v_mul_lo_u32 v19, v14, s28
	v_add_u32_e32 v14, s30, v18
	v_lshlrev_b64 v[12:13], 2, v[12:13]
	v_addc_co_u32_e32 v11, vcc, v9, v11, vcc
	v_add_u32_e32 v16, 0x180, v2
	v_add_u32_e32 v17, 0x180, v3
	;; [unrolled: 1-line block ×3, first 2 shown]
	v_ashrrev_i32_e32 v15, 31, v14
	v_add_co_u32_e32 v12, vcc, s15, v12
	v_mul_lo_u32 v17, v17, s28
	v_mul_lo_u32 v21, v16, s28
	v_add_u32_e32 v16, s30, v1
	v_addc_co_u32_e32 v13, vcc, v9, v13, vcc
	v_lshlrev_b64 v[14:15], 2, v[14:15]
	v_add_u32_e32 v24, s30, v17
	v_ashrrev_i32_e32 v17, 31, v16
	v_add_co_u32_e32 v14, vcc, s15, v14
	v_add_u32_e32 v18, s30, v19
	v_lshlrev_b64 v[16:17], 2, v[16:17]
	v_addc_co_u32_e32 v15, vcc, v9, v15, vcc
	v_ashrrev_i32_e32 v19, 31, v18
	v_add_co_u32_e32 v16, vcc, s15, v16
	v_lshlrev_b64 v[18:19], 2, v[18:19]
	v_addc_co_u32_e32 v17, vcc, v9, v17, vcc
	v_add_u32_e32 v22, s30, v21
	v_ashrrev_i32_e32 v21, 31, v20
	v_add_co_u32_e32 v18, vcc, s15, v18
	v_lshlrev_b64 v[20:21], 2, v[20:21]
	v_addc_co_u32_e32 v19, vcc, v9, v19, vcc
	v_ashrrev_i32_e32 v23, 31, v22
	v_add_co_u32_e32 v20, vcc, s15, v20
	v_lshlrev_b64 v[22:23], 2, v[22:23]
	v_addc_co_u32_e32 v21, vcc, v9, v21, vcc
	;; [unrolled: 4-line block ×3, first 2 shown]
	v_add_co_u32_e32 v24, vcc, s15, v24
	v_addc_co_u32_e32 v25, vcc, v9, v25, vcc
	global_load_dword v1, v[10:11], off
	global_load_dword v26, v[12:13], off
	;; [unrolled: 1-line block ×8, first 2 shown]
	v_add_u32_e32 v7, -4, v7
	s_add_i32 s33, s33, 8
	v_cmp_eq_u32_e32 vcc, 0, v7
	v_add_u32_e32 v3, 0x200, v3
	v_add_u32_e32 v2, 0x200, v2
	v_mov_b32_e32 v10, s33
	s_or_b64 s[26:27], vcc, s[26:27]
	s_waitcnt vmcnt(6)
	ds_write2st64_b32 v8, v1, v26 offset1:1
	s_waitcnt vmcnt(4)
	ds_write2st64_b32 v8, v27, v28 offset0:2 offset1:3
	s_waitcnt vmcnt(2)
	ds_write2st64_b32 v8, v29, v30 offset0:4 offset1:5
	;; [unrolled: 2-line block ×3, first 2 shown]
	v_add_u32_e32 v8, 0x800, v8
	s_andn2_b64 exec, exec, s[26:27]
	s_cbranch_execnz .LBB10_7
; %bb.8:
	s_or_b64 exec, exec, s[26:27]
.LBB10_9:
	s_or_b64 exec, exec, s[8:9]
	v_and_b32_e32 v1, 3, v6
	v_cmp_ne_u32_e32 vcc, 0, v1
	s_and_saveexec_b64 s[8:9], vcc
	s_cbranch_execz .LBB10_12
; %bb.10:
	v_lshlrev_b32_e32 v6, 2, v0
	v_lshl_or_b32 v6, v10, 8, v6
	s_mov_b64 s[26:27], 0
	v_mov_b32_e32 v7, s29
.LBB10_11:                              ; =>This Inner Loop Header: Depth=1
	v_mul_lo_u32 v8, v2, s28
	v_mul_lo_u32 v9, v3, s28
	v_add_u32_e32 v8, s30, v8
	v_add_u32_e32 v10, s30, v9
	v_ashrrev_i32_e32 v9, 31, v8
	v_lshlrev_b64 v[8:9], 2, v[8:9]
	v_ashrrev_i32_e32 v11, 31, v10
	v_add_co_u32_e32 v8, vcc, s15, v8
	v_lshlrev_b64 v[10:11], 2, v[10:11]
	v_addc_co_u32_e32 v9, vcc, v7, v9, vcc
	v_add_co_u32_e32 v10, vcc, s15, v10
	v_addc_co_u32_e32 v11, vcc, v7, v11, vcc
	global_load_dword v12, v[8:9], off
	global_load_dword v13, v[10:11], off
	v_add_u32_e32 v1, -1, v1
	v_cmp_eq_u32_e32 vcc, 0, v1
	v_add_u32_e32 v3, 0x80, v3
	v_add_u32_e32 v2, 0x80, v2
	s_or_b64 s[26:27], vcc, s[26:27]
	s_waitcnt vmcnt(0)
	ds_write2st64_b32 v6, v12, v13 offset1:1
	v_add_u32_e32 v6, 0x200, v6
	s_andn2_b64 exec, exec, s[26:27]
	s_cbranch_execnz .LBB10_11
.LBB10_12:
	s_or_b64 exec, exec, s[8:9]
	v_add_u32_e32 v2, 1, v5
	v_and_b32_e32 v3, 0x7fffffe, v2
	v_cmp_ne_u32_e32 vcc, v2, v3
	v_lshl_or_b32 v1, v3, 6, v0
	s_orn2_b64 s[8:9], vcc, exec
.LBB10_13:
	s_or_b64 exec, exec, s[2:3]
	s_and_b64 s[2:3], s[8:9], exec
	s_or_saveexec_b64 s[8:9], s[20:21]
	v_mov_b32_e32 v5, s31
	s_xor_b64 exec, exec, s[8:9]
	s_cbranch_execz .LBB10_3
.LBB10_14:
	s_lshl_b32 s20, s28, 6
	v_mov_b32_e32 v5, s20
	s_or_b64 s[2:3], s[2:3], exec
	v_mov_b32_e32 v1, v0
	s_or_b64 exec, exec, s[8:9]
	s_and_b64 exec, exec, s[2:3]
	s_cbranch_execz .LBB10_17
.LBB10_15:
	v_mul_lo_u32 v2, v1, s28
	v_add_u32_e32 v2, s30, v2
	v_lshlrev_b32_e32 v6, 2, v1
	s_mov_b64 s[2:3], 0
	v_mov_b32_e32 v7, s29
.LBB10_16:                              ; =>This Inner Loop Header: Depth=1
	v_ashrrev_i32_e32 v3, 31, v2
	v_lshlrev_b64 v[8:9], 2, v[2:3]
	v_add_co_u32_e32 v8, vcc, s15, v8
	v_addc_co_u32_e32 v9, vcc, v7, v9, vcc
	global_load_dword v3, v[8:9], off
	v_add_u32_e32 v1, 64, v1
	v_cmp_le_i32_e32 vcc, s24, v1
	v_add_u32_e32 v2, v2, v5
	s_or_b64 s[2:3], vcc, s[2:3]
	s_waitcnt vmcnt(0)
	ds_write_b32 v6, v3
	v_add_u32_e32 v6, 0x100, v6
	s_andn2_b64 exec, exec, s[2:3]
	s_cbranch_execnz .LBB10_16
.LBB10_17:
	s_or_b64 exec, exec, s[12:13]
	s_cmp_ge_i32 s14, s25
	s_waitcnt lgkmcnt(0)
	; wave barrier
	s_waitcnt lgkmcnt(0)
	s_cbranch_scc1 .LBB10_53
; %bb.18:
	s_lshl_b64 s[2:3], s[22:23], 2
	s_add_u32 s33, s10, s2
	s_addc_u32 s38, s11, s3
	s_mul_i32 s2, s6, s19
	s_mul_hi_u32 s3, s6, s18
	s_add_i32 s2, s3, s2
	s_mul_i32 s3, s7, s18
	s_load_dword s15, s[4:5], 0x48
	s_add_i32 s3, s2, s3
	s_mul_i32 s2, s6, s18
	s_lshl_b64 s[2:3], s[2:3], 2
	s_add_u32 s16, s16, s2
	v_lshrrev_b32_e32 v1, 6, v4
	s_addc_u32 s17, s17, s3
	v_add_u32_e32 v2, 1, v1
	v_add_u32_e32 v3, -1, v1
	s_movk_i32 s4, 0x1bf
	s_cmp_gt_i32 s24, 1
	v_lshrrev_b32_e32 v1, 1, v3
	v_cmp_lt_u32_e64 s[4:5], s4, v4
	v_cmp_lt_u32_e64 s[6:7], 63, v4
	v_and_b32_e32 v4, 0x7fffffe, v2
	s_cselect_b64 s[18:19], -1, 0
	v_add_u32_e32 v5, 1, v1
	v_and_b32_e32 v6, 7, v2
	v_cmp_ne_u32_e64 s[12:13], v2, v4
	v_lshlrev_b32_e32 v14, 2, v0
	s_waitcnt lgkmcnt(0)
	s_lshl_b32 s39, s15, 6
	v_mbcnt_lo_u32_b32 v2, -1, 0
	v_lshl_or_b32 v11, v4, 6, v0
	v_and_b32_e32 v12, 3, v5
	v_mov_b32_e32 v15, s38
	v_add_co_u32_e32 v16, vcc, s33, v14
	s_add_u32 s40, s33, 0x700
	v_mbcnt_hi_u32_b32 v20, -1, v2
	v_cmp_eq_u32_e64 s[20:21], 0, v0
	v_lshrrev_b32_e32 v10, 4, v0
	v_cmp_ne_u32_e64 s[2:3], 0, v6
	v_or_b32_e32 v1, 64, v0
	v_cmp_lt_u32_e64 s[8:9], 5, v3
	v_and_b32_e32 v13, -4, v5
	v_cmp_ne_u32_e64 s[10:11], 0, v12
	v_mov_b32_e32 v3, 0
	v_addc_co_u32_e32 v17, vcc, 0, v15, vcc
	s_mul_i32 s22, s14, s15
	v_lshlrev_b32_e32 v18, 2, v6
	s_addc_u32 s41, s38, 0
	v_lshlrev_b32_e32 v19, 2, v11
	v_and_b32_e32 v21, 63, v20
	s_branch .LBB10_20
.LBB10_19:                              ;   in Loop: Header=BB10_20 Depth=1
	s_or_b64 exec, exec, s[28:29]
	s_add_i32 s14, s14, 64
	s_add_i32 s22, s22, s39
	s_cmp_ge_i32 s14, s25
	s_cbranch_scc1 .LBB10_53
.LBB10_20:                              ; =>This Loop Header: Depth=1
                                        ;     Child Loop BB10_23 Depth 2
                                        ;     Child Loop BB10_27 Depth 2
	;; [unrolled: 1-line block ×5, first 2 shown]
	s_ashr_i32 s23, s22, 31
	s_lshl_b64 s[26:27], s[22:23], 2
	v_mov_b32_e32 v6, 0
	s_and_saveexec_b64 s[28:29], s[0:1]
	s_cbranch_execz .LBB10_30
; %bb.21:                               ;   in Loop: Header=BB10_20 Depth=1
	v_mov_b32_e32 v6, 0
	v_mov_b32_e32 v2, v0
	s_and_saveexec_b64 s[30:31], s[2:3]
	s_cbranch_execz .LBB10_25
; %bb.22:                               ;   in Loop: Header=BB10_20 Depth=1
	v_mov_b32_e32 v2, s27
	v_add_co_u32_e32 v4, vcc, s26, v16
	v_addc_co_u32_e32 v5, vcc, v17, v2, vcc
	s_mov_b64 s[34:35], 0
	v_mov_b32_e32 v6, 0
	v_mov_b32_e32 v7, v18
	;; [unrolled: 1-line block ×4, first 2 shown]
.LBB10_23:                              ;   Parent Loop BB10_20 Depth=1
                                        ; =>  This Inner Loop Header: Depth=2
	global_load_dword v9, v[4:5], off
	ds_read_b32 v22, v8
	v_add_co_u32_e32 v4, vcc, 0x100, v4
	v_add_u32_e32 v7, -4, v7
	v_addc_co_u32_e32 v5, vcc, 0, v5, vcc
	v_cmp_eq_u32_e32 vcc, 0, v7
	v_add_u32_e32 v2, 64, v2
	v_add_u32_e32 v8, 0x100, v8
	s_or_b64 s[34:35], vcc, s[34:35]
	s_waitcnt vmcnt(0) lgkmcnt(0)
	v_mul_f32_e32 v9, v22, v9
	v_add_f32_e32 v6, v6, v9
	s_andn2_b64 exec, exec, s[34:35]
	s_cbranch_execnz .LBB10_23
; %bb.24:                               ;   in Loop: Header=BB10_20 Depth=1
	s_or_b64 exec, exec, s[34:35]
.LBB10_25:                              ;   in Loop: Header=BB10_20 Depth=1
	s_or_b64 exec, exec, s[30:31]
	s_and_saveexec_b64 s[30:31], s[4:5]
	s_cbranch_execz .LBB10_29
; %bb.26:                               ;   in Loop: Header=BB10_20 Depth=1
	s_add_u32 s23, s40, s26
	v_lshlrev_b64 v[4:5], 2, v[2:3]
	s_addc_u32 s34, s41, s27
	v_mov_b32_e32 v8, s34
	v_add_co_u32_e32 v4, vcc, s23, v4
	v_lshlrev_b32_e32 v7, 2, v2
	v_addc_co_u32_e32 v5, vcc, v8, v5, vcc
	s_mov_b64 s[34:35], 0
.LBB10_27:                              ;   Parent Loop BB10_20 Depth=1
                                        ; =>  This Inner Loop Header: Depth=2
	global_load_dword v28, v[4:5], off offset:-1792
	global_load_dword v29, v[4:5], off offset:-1536
	;; [unrolled: 1-line block ×7, first 2 shown]
	global_load_dword v35, v[4:5], off
	ds_read2st64_b32 v[8:9], v7 offset1:1
	ds_read2st64_b32 v[22:23], v7 offset0:2 offset1:3
	ds_read2st64_b32 v[24:25], v7 offset0:4 offset1:5
	ds_read2st64_b32 v[26:27], v7 offset0:6 offset1:7
	v_add_co_u32_e32 v4, vcc, 0x800, v4
	v_add_u32_e32 v2, 0x200, v2
	v_addc_co_u32_e32 v5, vcc, 0, v5, vcc
	v_cmp_le_i32_e32 vcc, s24, v2
	v_add_u32_e32 v7, 0x800, v7
	s_or_b64 s[34:35], vcc, s[34:35]
	s_waitcnt vmcnt(7) lgkmcnt(3)
	v_mul_f32_e32 v8, v8, v28
	s_waitcnt vmcnt(6)
	v_mul_f32_e32 v9, v9, v29
	v_add_f32_e32 v6, v6, v8
	s_waitcnt vmcnt(5) lgkmcnt(2)
	v_mul_f32_e32 v22, v22, v30
	v_add_f32_e32 v6, v6, v9
	s_waitcnt vmcnt(4)
	v_mul_f32_e32 v23, v23, v31
	v_add_f32_e32 v6, v6, v22
	s_waitcnt vmcnt(3) lgkmcnt(1)
	v_mul_f32_e32 v24, v24, v32
	v_add_f32_e32 v6, v6, v23
	s_waitcnt vmcnt(2)
	v_mul_f32_e32 v25, v25, v33
	v_add_f32_e32 v6, v6, v24
	s_waitcnt vmcnt(1) lgkmcnt(0)
	v_mul_f32_e32 v26, v26, v34
	v_add_f32_e32 v6, v6, v25
	s_waitcnt vmcnt(0)
	v_mul_f32_e32 v27, v27, v35
	v_add_f32_e32 v6, v6, v26
	v_add_f32_e32 v6, v6, v27
	s_andn2_b64 exec, exec, s[34:35]
	s_cbranch_execnz .LBB10_27
; %bb.28:                               ;   in Loop: Header=BB10_20 Depth=1
	s_or_b64 exec, exec, s[34:35]
.LBB10_29:                              ;   in Loop: Header=BB10_20 Depth=1
	s_or_b64 exec, exec, s[30:31]
.LBB10_30:                              ;   in Loop: Header=BB10_20 Depth=1
	s_or_b64 exec, exec, s[28:29]
	s_and_b64 vcc, exec, s[18:19]
	s_cbranch_vccz .LBB10_35
; %bb.31:                               ;   in Loop: Header=BB10_20 Depth=1
	v_cmp_ne_u32_e32 vcc, 63, v21
	v_addc_co_u32_e32 v2, vcc, 0, v20, vcc
	v_lshlrev_b32_e32 v2, 2, v2
	ds_bpermute_b32 v2, v2, v6
	v_cmp_gt_u32_e32 vcc, 62, v21
	v_cndmask_b32_e64 v4, 0, 1, vcc
	v_lshlrev_b32_e32 v4, 1, v4
	v_add_lshl_u32 v4, v4, v20, 2
	s_waitcnt lgkmcnt(0)
	v_add_f32_e32 v2, v6, v2
	ds_bpermute_b32 v4, v4, v2
	v_cmp_gt_u32_e32 vcc, 60, v21
	v_cndmask_b32_e64 v5, 0, 1, vcc
	v_cmp_gt_u32_e32 vcc, 56, v21
	s_waitcnt lgkmcnt(0)
	v_add_f32_e32 v2, v2, v4
	v_lshlrev_b32_e32 v4, 2, v5
	v_add_lshl_u32 v4, v4, v20, 2
	ds_bpermute_b32 v4, v4, v2
	v_cndmask_b32_e64 v5, 0, 1, vcc
	v_cmp_gt_u32_e32 vcc, 48, v21
	s_waitcnt lgkmcnt(0)
	v_add_f32_e32 v2, v2, v4
	v_lshlrev_b32_e32 v4, 3, v5
	v_add_lshl_u32 v4, v4, v20, 2
	ds_bpermute_b32 v4, v4, v2
	;; [unrolled: 7-line block ×3, first 2 shown]
	v_cndmask_b32_e64 v5, 0, 1, vcc
	s_waitcnt lgkmcnt(0)
	v_add_f32_e32 v2, v2, v4
	v_lshlrev_b32_e32 v4, 5, v5
	v_add_lshl_u32 v4, v4, v20, 2
	ds_bpermute_b32 v4, v4, v2
	s_waitcnt lgkmcnt(0)
	v_add_f32_e32 v2, v2, v4
	s_and_saveexec_b64 s[28:29], s[20:21]
	s_cbranch_execz .LBB10_33
; %bb.32:                               ;   in Loop: Header=BB10_20 Depth=1
	ds_write_b32 v10, v2 offset:8192
.LBB10_33:                              ;   in Loop: Header=BB10_20 Depth=1
	s_or_b64 exec, exec, s[28:29]
	s_waitcnt lgkmcnt(0)
	; wave barrier
	s_waitcnt lgkmcnt(0)
	s_mov_b64 s[28:29], s[20:21]
.LBB10_34:                              ;   in Loop: Header=BB10_20 Depth=1
	v_mov_b32_e32 v6, v2
	s_and_saveexec_b64 s[30:31], s[28:29]
	s_cbranch_execnz .LBB10_37
	s_branch .LBB10_38
.LBB10_35:                              ;   in Loop: Header=BB10_20 Depth=1
	s_mov_b64 s[28:29], 0
                                        ; implicit-def: $vgpr2
	s_cbranch_execz .LBB10_34
; %bb.36:                               ;   in Loop: Header=BB10_20 Depth=1
	s_andn2_b64 s[28:29], s[28:29], exec
	s_and_b64 s[30:31], s[20:21], exec
	s_or_b64 s[28:29], s[28:29], s[30:31]
	s_and_saveexec_b64 s[30:31], s[28:29]
	s_cbranch_execz .LBB10_38
.LBB10_37:                              ;   in Loop: Header=BB10_20 Depth=1
	ds_write_b32 v3, v6 offset:8192
.LBB10_38:                              ;   in Loop: Header=BB10_20 Depth=1
	s_or_b64 exec, exec, s[30:31]
	s_waitcnt lgkmcnt(0)
	; wave barrier
	s_waitcnt lgkmcnt(0)
	s_and_saveexec_b64 s[28:29], s[0:1]
	s_cbranch_execz .LBB10_19
; %bb.39:                               ;   in Loop: Header=BB10_20 Depth=1
	global_load_dword v2, v3, s[16:17]
	ds_read_b32 v4, v3 offset:8192
	s_mov_b64 s[34:35], -1
	v_mov_b32_e32 v6, v0
	s_waitcnt vmcnt(0) lgkmcnt(0)
	v_mul_f32_e64 v4, v4, -v2
	v_mov_b32_e32 v2, v14
	s_and_saveexec_b64 s[30:31], s[6:7]
	s_cbranch_execz .LBB10_50
; %bb.40:                               ;   in Loop: Header=BB10_20 Depth=1
	s_mul_i32 s23, s14, s15
	v_mov_b32_e32 v5, v4
	v_mov_b32_e32 v9, 0
	v_pk_mov_b32 v[6:7], v[0:1], v[0:1] op_sel:[0,1]
	s_and_saveexec_b64 s[34:35], s[8:9]
	s_cbranch_execz .LBB10_44
; %bb.41:                               ;   in Loop: Header=BB10_20 Depth=1
	s_mov_b32 s42, 0
	s_mov_b64 s[36:37], 0
	v_mov_b32_e32 v2, v13
	v_mov_b32_e32 v8, v14
	v_pk_mov_b32 v[6:7], v[0:1], v[0:1] op_sel:[0,1]
.LBB10_42:                              ;   Parent Loop BB10_20 Depth=1
                                        ; =>  This Inner Loop Header: Depth=2
	v_add_u32_e32 v22, s23, v6
	v_ashrrev_i32_e32 v23, 31, v22
	v_add_u32_e32 v24, s23, v7
	v_lshlrev_b64 v[26:27], 2, v[22:23]
	v_ashrrev_i32_e32 v25, 31, v24
	v_add_co_u32_e32 v26, vcc, s33, v26
	v_lshlrev_b64 v[28:29], 2, v[24:25]
	v_addc_co_u32_e32 v27, vcc, v15, v27, vcc
	v_add_co_u32_e32 v28, vcc, s33, v28
	v_addc_co_u32_e32 v29, vcc, v15, v29, vcc
	global_load_dword v30, v[26:27], off
	global_load_dword v31, v[28:29], off
	v_add_u32_e32 v40, 0x80, v22
	v_ashrrev_i32_e32 v41, 31, v40
	ds_read2st64_b32 v[32:33], v8 offset1:1
	ds_read2st64_b32 v[34:35], v8 offset0:2 offset1:3
	ds_read2st64_b32 v[36:37], v8 offset0:4 offset1:5
	;; [unrolled: 1-line block ×3, first 2 shown]
	v_add_u32_e32 v42, 0x80, v24
	v_lshlrev_b64 v[40:41], 2, v[40:41]
	v_ashrrev_i32_e32 v43, 31, v42
	v_add_co_u32_e32 v40, vcc, s33, v40
	v_lshlrev_b64 v[42:43], 2, v[42:43]
	v_addc_co_u32_e32 v41, vcc, v15, v41, vcc
	v_add_co_u32_e32 v42, vcc, s33, v42
	v_addc_co_u32_e32 v43, vcc, v15, v43, vcc
	v_add_u32_e32 v2, -4, v2
	s_add_i32 s42, s42, 8
	v_add_u32_e32 v7, 0x200, v7
	v_add_u32_e32 v6, 0x200, v6
	;; [unrolled: 1-line block ×3, first 2 shown]
	v_mov_b32_e32 v9, s42
	s_waitcnt vmcnt(0) lgkmcnt(3)
	v_pk_fma_f32 v[30:31], v[4:5], v[32:33], v[30:31]
	global_store_dword v[26:27], v30, off
	global_store_dword v[28:29], v31, off
	global_load_dword v26, v[40:41], off
	s_nop 0
	global_load_dword v27, v[42:43], off
	v_add_u32_e32 v28, 0x100, v22
	v_ashrrev_i32_e32 v29, 31, v28
	v_add_u32_e32 v30, 0x100, v24
	v_lshlrev_b64 v[28:29], 2, v[28:29]
	v_ashrrev_i32_e32 v31, 31, v30
	v_add_co_u32_e32 v28, vcc, s33, v28
	v_lshlrev_b64 v[30:31], 2, v[30:31]
	v_addc_co_u32_e32 v29, vcc, v15, v29, vcc
	v_add_co_u32_e32 v30, vcc, s33, v30
	v_addc_co_u32_e32 v31, vcc, v15, v31, vcc
	v_add_u32_e32 v22, 0x180, v22
	v_ashrrev_i32_e32 v23, 31, v22
	v_add_u32_e32 v24, 0x180, v24
	v_lshlrev_b64 v[22:23], 2, v[22:23]
	v_ashrrev_i32_e32 v25, 31, v24
	v_add_co_u32_e32 v22, vcc, s33, v22
	v_lshlrev_b64 v[24:25], 2, v[24:25]
	v_addc_co_u32_e32 v23, vcc, v15, v23, vcc
	v_add_co_u32_e32 v24, vcc, s33, v24
	v_addc_co_u32_e32 v25, vcc, v15, v25, vcc
	v_cmp_eq_u32_e32 vcc, 0, v2
	s_or_b64 s[36:37], vcc, s[36:37]
	s_waitcnt vmcnt(0) lgkmcnt(2)
	v_pk_fma_f32 v[26:27], v[4:5], v[34:35], v[26:27]
	global_store_dword v[40:41], v26, off
	global_store_dword v[42:43], v27, off
	global_load_dword v26, v[28:29], off
	s_nop 0
	global_load_dword v27, v[30:31], off
	s_waitcnt vmcnt(0) lgkmcnt(1)
	v_pk_fma_f32 v[26:27], v[4:5], v[36:37], v[26:27]
	global_store_dword v[28:29], v26, off
	global_store_dword v[30:31], v27, off
	global_load_dword v26, v[22:23], off
	s_nop 0
	global_load_dword v27, v[24:25], off
	s_waitcnt vmcnt(0) lgkmcnt(0)
	v_pk_fma_f32 v[26:27], v[4:5], v[38:39], v[26:27]
	global_store_dword v[22:23], v26, off
	global_store_dword v[24:25], v27, off
	s_andn2_b64 exec, exec, s[36:37]
	s_cbranch_execnz .LBB10_42
; %bb.43:                               ;   in Loop: Header=BB10_20 Depth=1
	s_or_b64 exec, exec, s[36:37]
.LBB10_44:                              ;   in Loop: Header=BB10_20 Depth=1
	s_or_b64 exec, exec, s[34:35]
	s_and_saveexec_b64 s[34:35], s[10:11]
	s_cbranch_execz .LBB10_47
; %bb.45:                               ;   in Loop: Header=BB10_20 Depth=1
	v_lshl_or_b32 v2, v9, 8, v14
	s_mov_b64 s[36:37], 0
	v_mov_b32_e32 v8, v12
.LBB10_46:                              ;   Parent Loop BB10_20 Depth=1
                                        ; =>  This Inner Loop Header: Depth=2
	v_add_u32_e32 v22, s23, v6
	v_ashrrev_i32_e32 v23, 31, v22
	v_add_u32_e32 v24, s23, v7
	v_lshlrev_b64 v[22:23], 2, v[22:23]
	v_ashrrev_i32_e32 v25, 31, v24
	v_add_co_u32_e32 v22, vcc, s33, v22
	v_lshlrev_b64 v[24:25], 2, v[24:25]
	v_addc_co_u32_e32 v23, vcc, v15, v23, vcc
	v_add_co_u32_e32 v24, vcc, s33, v24
	v_addc_co_u32_e32 v25, vcc, v15, v25, vcc
	global_load_dword v26, v[22:23], off
	global_load_dword v27, v[24:25], off
	ds_read2st64_b32 v[28:29], v2 offset1:1
	v_add_u32_e32 v8, -1, v8
	v_cmp_eq_u32_e32 vcc, 0, v8
	v_add_u32_e32 v7, 0x80, v7
	v_add_u32_e32 v6, 0x80, v6
	;; [unrolled: 1-line block ×3, first 2 shown]
	s_or_b64 s[36:37], vcc, s[36:37]
	s_waitcnt vmcnt(0) lgkmcnt(0)
	v_pk_fma_f32 v[26:27], v[4:5], v[28:29], v[26:27]
	global_store_dword v[22:23], v26, off
	global_store_dword v[24:25], v27, off
	s_andn2_b64 exec, exec, s[36:37]
	s_cbranch_execnz .LBB10_46
.LBB10_47:                              ;   in Loop: Header=BB10_20 Depth=1
	s_or_b64 exec, exec, s[34:35]
	s_mov_b64 s[34:35], 0
	s_and_saveexec_b64 s[36:37], s[12:13]
	s_xor_b64 s[36:37], exec, s[36:37]
; %bb.48:                               ;   in Loop: Header=BB10_20 Depth=1
	s_mov_b64 s[34:35], exec
; %bb.49:                               ;   in Loop: Header=BB10_20 Depth=1
	s_or_b64 exec, exec, s[36:37]
	s_orn2_b64 s[34:35], s[34:35], exec
	v_mov_b32_e32 v6, v11
	v_mov_b32_e32 v2, v19
.LBB10_50:                              ;   in Loop: Header=BB10_20 Depth=1
	s_or_b64 exec, exec, s[30:31]
	s_and_b64 exec, exec, s[34:35]
	s_cbranch_execz .LBB10_19
; %bb.51:                               ;   in Loop: Header=BB10_20 Depth=1
	v_ashrrev_i32_e32 v7, 31, v6
	s_add_u32 s23, s33, s26
	v_lshlrev_b64 v[8:9], 2, v[6:7]
	s_addc_u32 s26, s38, s27
	v_mov_b32_e32 v5, s26
	v_add_co_u32_e32 v8, vcc, s23, v8
	v_addc_co_u32_e32 v9, vcc, v5, v9, vcc
	s_mov_b64 s[26:27], 0
.LBB10_52:                              ;   Parent Loop BB10_20 Depth=1
                                        ; =>  This Inner Loop Header: Depth=2
	global_load_dword v5, v[8:9], off
	ds_read_b32 v7, v2
	v_add_u32_e32 v6, 64, v6
	v_cmp_le_i32_e32 vcc, s24, v6
	s_or_b64 s[26:27], vcc, s[26:27]
	v_add_u32_e32 v2, 0x100, v2
	s_waitcnt vmcnt(0) lgkmcnt(0)
	v_fmac_f32_e32 v5, v4, v7
	global_store_dword v[8:9], v5, off
	v_add_co_u32_e32 v8, vcc, 0x100, v8
	v_addc_co_u32_e32 v9, vcc, 0, v9, vcc
	s_andn2_b64 exec, exec, s[26:27]
	s_cbranch_execnz .LBB10_52
	s_branch .LBB10_19
.LBB10_53:
	s_endpgm
	.section	.rodata,"a",@progbits
	.p2align	6, 0x0
	.amdhsa_kernel _ZN9rocsolver6v33100L22larf_left_kernel_smallILi64EfiPKPfEEvT1_S5_T2_lS5_lPKT0_lS6_lS5_l
		.amdhsa_group_segment_fixed_size 8448
		.amdhsa_private_segment_fixed_size 0
		.amdhsa_kernarg_size 88
		.amdhsa_user_sgpr_count 6
		.amdhsa_user_sgpr_private_segment_buffer 1
		.amdhsa_user_sgpr_dispatch_ptr 0
		.amdhsa_user_sgpr_queue_ptr 0
		.amdhsa_user_sgpr_kernarg_segment_ptr 1
		.amdhsa_user_sgpr_dispatch_id 0
		.amdhsa_user_sgpr_flat_scratch_init 0
		.amdhsa_user_sgpr_kernarg_preload_length 0
		.amdhsa_user_sgpr_kernarg_preload_offset 0
		.amdhsa_user_sgpr_private_segment_size 0
		.amdhsa_uses_dynamic_stack 0
		.amdhsa_system_sgpr_private_segment_wavefront_offset 0
		.amdhsa_system_sgpr_workgroup_id_x 1
		.amdhsa_system_sgpr_workgroup_id_y 1
		.amdhsa_system_sgpr_workgroup_id_z 0
		.amdhsa_system_sgpr_workgroup_info 0
		.amdhsa_system_vgpr_workitem_id 0
		.amdhsa_next_free_vgpr 44
		.amdhsa_next_free_sgpr 43
		.amdhsa_accum_offset 44
		.amdhsa_reserve_vcc 1
		.amdhsa_reserve_flat_scratch 0
		.amdhsa_float_round_mode_32 0
		.amdhsa_float_round_mode_16_64 0
		.amdhsa_float_denorm_mode_32 3
		.amdhsa_float_denorm_mode_16_64 3
		.amdhsa_dx10_clamp 1
		.amdhsa_ieee_mode 1
		.amdhsa_fp16_overflow 0
		.amdhsa_tg_split 0
		.amdhsa_exception_fp_ieee_invalid_op 0
		.amdhsa_exception_fp_denorm_src 0
		.amdhsa_exception_fp_ieee_div_zero 0
		.amdhsa_exception_fp_ieee_overflow 0
		.amdhsa_exception_fp_ieee_underflow 0
		.amdhsa_exception_fp_ieee_inexact 0
		.amdhsa_exception_int_div_zero 0
	.end_amdhsa_kernel
	.section	.text._ZN9rocsolver6v33100L22larf_left_kernel_smallILi64EfiPKPfEEvT1_S5_T2_lS5_lPKT0_lS6_lS5_l,"axG",@progbits,_ZN9rocsolver6v33100L22larf_left_kernel_smallILi64EfiPKPfEEvT1_S5_T2_lS5_lPKT0_lS6_lS5_l,comdat
.Lfunc_end10:
	.size	_ZN9rocsolver6v33100L22larf_left_kernel_smallILi64EfiPKPfEEvT1_S5_T2_lS5_lPKT0_lS6_lS5_l, .Lfunc_end10-_ZN9rocsolver6v33100L22larf_left_kernel_smallILi64EfiPKPfEEvT1_S5_T2_lS5_lPKT0_lS6_lS5_l
                                        ; -- End function
	.section	.AMDGPU.csdata,"",@progbits
; Kernel info:
; codeLenInByte = 3236
; NumSgprs: 47
; NumVgprs: 44
; NumAgprs: 0
; TotalNumVgprs: 44
; ScratchSize: 0
; MemoryBound: 0
; FloatMode: 240
; IeeeMode: 1
; LDSByteSize: 8448 bytes/workgroup (compile time only)
; SGPRBlocks: 5
; VGPRBlocks: 5
; NumSGPRsForWavesPerEU: 47
; NumVGPRsForWavesPerEU: 44
; AccumOffset: 44
; Occupancy: 2
; WaveLimiterHint : 1
; COMPUTE_PGM_RSRC2:SCRATCH_EN: 0
; COMPUTE_PGM_RSRC2:USER_SGPR: 6
; COMPUTE_PGM_RSRC2:TRAP_HANDLER: 0
; COMPUTE_PGM_RSRC2:TGID_X_EN: 1
; COMPUTE_PGM_RSRC2:TGID_Y_EN: 1
; COMPUTE_PGM_RSRC2:TGID_Z_EN: 0
; COMPUTE_PGM_RSRC2:TIDIG_COMP_CNT: 0
; COMPUTE_PGM_RSRC3_GFX90A:ACCUM_OFFSET: 10
; COMPUTE_PGM_RSRC3_GFX90A:TG_SPLIT: 0
	.section	.text._ZN9rocsolver6v33100L22larf_left_kernel_smallILi128EfiPKPfEEvT1_S5_T2_lS5_lPKT0_lS6_lS5_l,"axG",@progbits,_ZN9rocsolver6v33100L22larf_left_kernel_smallILi128EfiPKPfEEvT1_S5_T2_lS5_lPKT0_lS6_lS5_l,comdat
	.globl	_ZN9rocsolver6v33100L22larf_left_kernel_smallILi128EfiPKPfEEvT1_S5_T2_lS5_lPKT0_lS6_lS5_l ; -- Begin function _ZN9rocsolver6v33100L22larf_left_kernel_smallILi128EfiPKPfEEvT1_S5_T2_lS5_lPKT0_lS6_lS5_l
	.p2align	8
	.type	_ZN9rocsolver6v33100L22larf_left_kernel_smallILi128EfiPKPfEEvT1_S5_T2_lS5_lPKT0_lS6_lS5_l,@function
_ZN9rocsolver6v33100L22larf_left_kernel_smallILi128EfiPKPfEEvT1_S5_T2_lS5_lPKT0_lS6_lS5_l: ; @_ZN9rocsolver6v33100L22larf_left_kernel_smallILi128EfiPKPfEEvT1_S5_T2_lS5_lPKT0_lS6_lS5_l
; %bb.0:
	s_load_dwordx8 s[20:27], s[4:5], 0x28
	s_load_dwordx2 s[28:29], s[4:5], 0x0
	s_mov_b32 s18, s7
	s_ashr_i32 s7, s6, 31
	s_lshl_b64 s[2:3], s[6:7], 3
	s_waitcnt lgkmcnt(0)
	s_add_u32 s0, s24, s2
	s_addc_u32 s1, s25, s3
	s_load_dwordx2 s[10:11], s[0:1], 0x0
	v_cmp_gt_i32_e64 s[0:1], s28, v0
	v_xad_u32 v4, v0, -1, s28
	s_and_saveexec_b64 s[12:13], s[0:1]
	s_cbranch_execz .LBB11_17
; %bb.1:
	s_load_dwordx4 s[36:39], s[4:5], 0x8
	s_load_dword s24, s[4:5], 0x18
	s_movk_i32 s8, 0xb7f
	v_cmp_lt_u32_e32 vcc, s8, v4
                                        ; implicit-def: $vgpr1
                                        ; implicit-def: $sgpr31
	s_waitcnt lgkmcnt(0)
	s_add_u32 s2, s36, s2
	s_addc_u32 s3, s37, s3
	s_load_dwordx2 s[2:3], s[2:3], 0x0
	s_lshl_b64 s[8:9], s[38:39], 2
	s_waitcnt lgkmcnt(0)
	s_add_u32 s19, s2, s8
	s_addc_u32 s25, s3, s9
	s_sub_i32 s2, 1, s28
	s_mul_i32 s2, s2, s24
	s_cmp_lt_i32 s24, 1
	s_cselect_b32 s30, s2, 0
	s_mov_b64 s[2:3], 0
	s_and_saveexec_b64 s[8:9], vcc
	s_xor_b64 s[14:15], exec, s[8:9]
	s_cbranch_execnz .LBB11_4
; %bb.2:
	s_or_saveexec_b64 s[8:9], s[14:15]
	v_mov_b32_e32 v5, s31
	s_xor_b64 exec, exec, s[8:9]
	s_cbranch_execnz .LBB11_14
.LBB11_3:
	s_or_b64 exec, exec, s[8:9]
	s_and_b64 exec, exec, s[2:3]
	s_cbranch_execnz .LBB11_15
	s_branch .LBB11_17
.LBB11_4:
	s_lshl_b32 s31, s24, 7
	s_sub_i32 s8, 0, s31
	s_cmp_lt_i32 s31, 0
	s_cselect_b64 vcc, -1, 0
	s_and_b64 s[2:3], vcc, exec
	v_lshrrev_b32_e32 v5, 7, v4
	s_cselect_b32 s8, s8, s31
	v_mul_lo_u32 v1, v0, s24
	v_mul_hi_u32 v2, s8, v5
	v_add_u32_e32 v1, s30, v1
	v_cmp_eq_u32_e64 s[2:3], 0, v2
	v_mul_lo_u32 v2, s8, v5
	v_add_u32_e32 v3, v1, v2
	v_sub_u32_e32 v2, v1, v2
	v_cmp_gt_i32_e64 s[8:9], v2, v1
	v_cndmask_b32_e64 v2, 0, 1, s[8:9]
	v_cmp_lt_i32_e64 s[8:9], v3, v1
	v_cndmask_b32_e64 v1, 0, 1, s[8:9]
	v_cndmask_b32_e32 v1, v1, v2, vcc
	v_and_b32_e32 v1, 1, v1
	v_cmp_eq_u32_e32 vcc, 1, v1
	s_xor_b64 s[16:17], vcc, -1
	s_mov_b64 s[8:9], -1
	s_and_b64 s[16:17], s[16:17], s[2:3]
	v_mov_b32_e32 v1, v0
	s_and_saveexec_b64 s[2:3], s[16:17]
	s_cbranch_execz .LBB11_13
; %bb.5:
	v_add_u32_e32 v2, -1, v5
	v_or_b32_e32 v1, 0x80, v0
	v_lshrrev_b32_e32 v3, 1, v2
	v_add_u32_e32 v6, 1, v3
	v_cmp_lt_u32_e32 vcc, 5, v2
	v_mov_b32_e32 v10, 0
	v_pk_mov_b32 v[2:3], v[0:1], v[0:1] op_sel:[0,1]
	s_and_saveexec_b64 s[8:9], vcc
	s_cbranch_execz .LBB11_9
; %bb.6:
	v_and_b32_e32 v7, -4, v6
	v_lshlrev_b32_e32 v8, 2, v0
	s_mov_b32 s33, 0
	s_mov_b64 s[16:17], 0
	v_mov_b32_e32 v9, s25
	v_pk_mov_b32 v[2:3], v[0:1], v[0:1] op_sel:[0,1]
.LBB11_7:                               ; =>This Inner Loop Header: Depth=1
	v_mul_lo_u32 v10, v2, s24
	v_add_u32_e32 v11, 0x100, v2
	v_add_u32_e32 v10, s30, v10
	v_mul_lo_u32 v1, v3, s24
	v_mul_lo_u32 v18, v11, s24
	v_ashrrev_i32_e32 v11, 31, v10
	v_add_u32_e32 v13, 0x100, v3
	v_add_u32_e32 v12, s30, v1
	v_lshlrev_b64 v[10:11], 2, v[10:11]
	v_add_u32_e32 v14, 0x200, v2
	v_add_u32_e32 v15, 0x200, v3
	v_mul_lo_u32 v1, v13, s24
	v_ashrrev_i32_e32 v13, 31, v12
	v_add_co_u32_e32 v10, vcc, s19, v10
	v_mul_lo_u32 v15, v15, s24
	v_mul_lo_u32 v19, v14, s24
	v_add_u32_e32 v14, s30, v18
	v_lshlrev_b64 v[12:13], 2, v[12:13]
	v_addc_co_u32_e32 v11, vcc, v9, v11, vcc
	v_add_u32_e32 v16, 0x300, v2
	v_add_u32_e32 v17, 0x300, v3
	v_add_u32_e32 v20, s30, v15
	v_ashrrev_i32_e32 v15, 31, v14
	v_add_co_u32_e32 v12, vcc, s19, v12
	v_mul_lo_u32 v17, v17, s24
	v_mul_lo_u32 v21, v16, s24
	v_add_u32_e32 v16, s30, v1
	v_addc_co_u32_e32 v13, vcc, v9, v13, vcc
	v_lshlrev_b64 v[14:15], 2, v[14:15]
	v_add_u32_e32 v24, s30, v17
	v_ashrrev_i32_e32 v17, 31, v16
	v_add_co_u32_e32 v14, vcc, s19, v14
	v_add_u32_e32 v18, s30, v19
	v_lshlrev_b64 v[16:17], 2, v[16:17]
	v_addc_co_u32_e32 v15, vcc, v9, v15, vcc
	v_ashrrev_i32_e32 v19, 31, v18
	v_add_co_u32_e32 v16, vcc, s19, v16
	v_lshlrev_b64 v[18:19], 2, v[18:19]
	v_addc_co_u32_e32 v17, vcc, v9, v17, vcc
	v_add_u32_e32 v22, s30, v21
	v_ashrrev_i32_e32 v21, 31, v20
	v_add_co_u32_e32 v18, vcc, s19, v18
	v_lshlrev_b64 v[20:21], 2, v[20:21]
	v_addc_co_u32_e32 v19, vcc, v9, v19, vcc
	v_ashrrev_i32_e32 v23, 31, v22
	v_add_co_u32_e32 v20, vcc, s19, v20
	v_lshlrev_b64 v[22:23], 2, v[22:23]
	v_addc_co_u32_e32 v21, vcc, v9, v21, vcc
	;; [unrolled: 4-line block ×3, first 2 shown]
	v_add_co_u32_e32 v24, vcc, s19, v24
	v_addc_co_u32_e32 v25, vcc, v9, v25, vcc
	global_load_dword v1, v[10:11], off
	global_load_dword v26, v[12:13], off
	;; [unrolled: 1-line block ×8, first 2 shown]
	v_add_u32_e32 v7, -4, v7
	s_add_i32 s33, s33, 8
	v_cmp_eq_u32_e32 vcc, 0, v7
	v_add_u32_e32 v3, 0x400, v3
	v_add_u32_e32 v2, 0x400, v2
	v_mov_b32_e32 v10, s33
	s_or_b64 s[16:17], vcc, s[16:17]
	s_waitcnt vmcnt(6)
	ds_write2st64_b32 v8, v1, v26 offset1:2
	s_waitcnt vmcnt(4)
	ds_write2st64_b32 v8, v27, v28 offset0:4 offset1:6
	s_waitcnt vmcnt(2)
	ds_write2st64_b32 v8, v29, v30 offset0:8 offset1:10
	;; [unrolled: 2-line block ×3, first 2 shown]
	v_add_u32_e32 v8, 0x1000, v8
	s_andn2_b64 exec, exec, s[16:17]
	s_cbranch_execnz .LBB11_7
; %bb.8:
	s_or_b64 exec, exec, s[16:17]
.LBB11_9:
	s_or_b64 exec, exec, s[8:9]
	v_and_b32_e32 v1, 3, v6
	v_cmp_ne_u32_e32 vcc, 0, v1
	s_and_saveexec_b64 s[8:9], vcc
	s_cbranch_execz .LBB11_12
; %bb.10:
	v_lshlrev_b32_e32 v6, 2, v0
	v_lshl_or_b32 v6, v10, 9, v6
	s_mov_b64 s[16:17], 0
	v_mov_b32_e32 v7, s25
.LBB11_11:                              ; =>This Inner Loop Header: Depth=1
	v_mul_lo_u32 v8, v2, s24
	v_mul_lo_u32 v9, v3, s24
	v_add_u32_e32 v8, s30, v8
	v_add_u32_e32 v10, s30, v9
	v_ashrrev_i32_e32 v9, 31, v8
	v_lshlrev_b64 v[8:9], 2, v[8:9]
	v_ashrrev_i32_e32 v11, 31, v10
	v_add_co_u32_e32 v8, vcc, s19, v8
	v_lshlrev_b64 v[10:11], 2, v[10:11]
	v_addc_co_u32_e32 v9, vcc, v7, v9, vcc
	v_add_co_u32_e32 v10, vcc, s19, v10
	v_addc_co_u32_e32 v11, vcc, v7, v11, vcc
	global_load_dword v12, v[8:9], off
	global_load_dword v13, v[10:11], off
	v_add_u32_e32 v1, -1, v1
	v_cmp_eq_u32_e32 vcc, 0, v1
	v_add_u32_e32 v3, 0x100, v3
	v_add_u32_e32 v2, 0x100, v2
	s_or_b64 s[16:17], vcc, s[16:17]
	s_waitcnt vmcnt(0)
	ds_write2st64_b32 v6, v12, v13 offset1:2
	v_add_u32_e32 v6, 0x400, v6
	s_andn2_b64 exec, exec, s[16:17]
	s_cbranch_execnz .LBB11_11
.LBB11_12:
	s_or_b64 exec, exec, s[8:9]
	v_add_u32_e32 v2, 1, v5
	v_and_b32_e32 v3, 0x3fffffe, v2
	v_cmp_ne_u32_e32 vcc, v2, v3
	v_lshl_or_b32 v1, v3, 7, v0
	s_orn2_b64 s[8:9], vcc, exec
.LBB11_13:
	s_or_b64 exec, exec, s[2:3]
	s_and_b64 s[2:3], s[8:9], exec
	s_or_saveexec_b64 s[8:9], s[14:15]
	v_mov_b32_e32 v5, s31
	s_xor_b64 exec, exec, s[8:9]
	s_cbranch_execz .LBB11_3
.LBB11_14:
	s_lshl_b32 s14, s24, 7
	v_mov_b32_e32 v5, s14
	s_or_b64 s[2:3], s[2:3], exec
	v_mov_b32_e32 v1, v0
	s_or_b64 exec, exec, s[8:9]
	s_and_b64 exec, exec, s[2:3]
	s_cbranch_execz .LBB11_17
.LBB11_15:
	v_mul_lo_u32 v2, v1, s24
	v_add_u32_e32 v2, s30, v2
	v_lshlrev_b32_e32 v6, 2, v1
	s_mov_b64 s[2:3], 0
	v_mov_b32_e32 v7, s25
.LBB11_16:                              ; =>This Inner Loop Header: Depth=1
	v_ashrrev_i32_e32 v3, 31, v2
	v_lshlrev_b64 v[8:9], 2, v[2:3]
	v_add_co_u32_e32 v8, vcc, s19, v8
	v_addc_co_u32_e32 v9, vcc, v7, v9, vcc
	global_load_dword v3, v[8:9], off
	v_add_u32_e32 v1, 0x80, v1
	v_cmp_le_i32_e32 vcc, s28, v1
	v_add_u32_e32 v2, v2, v5
	s_or_b64 s[2:3], vcc, s[2:3]
	s_waitcnt vmcnt(0)
	ds_write_b32 v6, v3
	v_add_u32_e32 v6, 0x200, v6
	s_andn2_b64 exec, exec, s[2:3]
	s_cbranch_execnz .LBB11_16
.LBB11_17:
	s_or_b64 exec, exec, s[12:13]
	s_cmp_ge_i32 s18, s29
	s_waitcnt lgkmcnt(0)
	s_barrier
	s_cbranch_scc1 .LBB11_55
; %bb.18:
	s_lshl_b64 s[2:3], s[26:27], 2
	s_add_u32 s33, s10, s2
	s_addc_u32 s40, s11, s3
	s_mul_i32 s2, s6, s23
	s_mul_hi_u32 s3, s6, s22
	s_add_i32 s2, s3, s2
	s_mul_i32 s3, s7, s22
	s_add_i32 s3, s2, s3
	s_mul_i32 s2, s6, s22
	s_load_dword s19, s[4:5], 0x48
	s_lshl_b64 s[2:3], s[2:3], 2
	s_add_u32 s20, s20, s2
	v_and_b32_e32 v1, 63, v0
	s_addc_u32 s21, s21, s3
	v_cmp_eq_u32_e64 s[2:3], 0, v1
	v_lshrrev_b32_e32 v1, 7, v4
	v_add_u32_e32 v2, 1, v1
	v_add_u32_e32 v3, -1, v1
	s_movk_i32 s8, 0x37f
	s_movk_i32 s10, 0x7f
	s_cmp_gt_i32 s28, 1
	v_lshrrev_b32_e32 v1, 1, v3
	v_cmp_lt_u32_e64 s[8:9], s8, v4
	v_cmp_lt_u32_e64 s[10:11], s10, v4
	v_and_b32_e32 v4, 0x3fffffe, v2
	s_cselect_b64 s[22:23], -1, 0
	v_add_u32_e32 v5, 1, v1
	v_and_b32_e32 v6, 7, v2
	v_cmp_ne_u32_e64 s[16:17], v2, v4
	v_lshlrev_b32_e32 v14, 2, v0
	s_waitcnt lgkmcnt(0)
	s_lshl_b32 s41, s19, 6
	v_mbcnt_lo_u32_b32 v2, -1, 0
	v_and_b32_e32 v12, 3, v5
	v_mov_b32_e32 v15, s40
	v_add_co_u32_e32 v16, vcc, s33, v14
	s_add_u32 s42, s33, 0x800
	v_mbcnt_hi_u32_b32 v19, -1, v2
	v_lshrrev_b32_e32 v10, 4, v0
	v_cmp_eq_u32_e64 s[4:5], 0, v0
	v_cmp_ne_u32_e64 s[6:7], 0, v6
	v_lshl_or_b32 v11, v4, 7, v0
	v_or_b32_e32 v1, 0x80, v0
	v_cmp_lt_u32_e64 s[12:13], 5, v3
	v_and_b32_e32 v13, -4, v5
	v_cmp_ne_u32_e64 s[14:15], 0, v12
	v_mov_b32_e32 v3, 0
	v_addc_co_u32_e32 v17, vcc, 0, v15, vcc
	s_mul_i32 s24, s18, s19
	v_lshlrev_b32_e32 v18, 2, v6
	s_addc_u32 s43, s40, 0
	v_and_b32_e32 v20, 63, v19
	s_branch .LBB11_20
.LBB11_19:                              ;   in Loop: Header=BB11_20 Depth=1
	s_or_b64 exec, exec, s[30:31]
	s_add_i32 s18, s18, 64
	s_add_i32 s24, s24, s41
	s_cmp_ge_i32 s18, s29
	s_cbranch_scc1 .LBB11_55
.LBB11_20:                              ; =>This Loop Header: Depth=1
                                        ;     Child Loop BB11_23 Depth 2
                                        ;     Child Loop BB11_27 Depth 2
	;; [unrolled: 1-line block ×5, first 2 shown]
	s_ashr_i32 s25, s24, 31
	s_lshl_b64 s[26:27], s[24:25], 2
	v_mov_b32_e32 v6, 0
	s_and_saveexec_b64 s[30:31], s[0:1]
	s_cbranch_execz .LBB11_30
; %bb.21:                               ;   in Loop: Header=BB11_20 Depth=1
	v_mov_b32_e32 v6, 0
	v_mov_b32_e32 v2, v0
	s_and_saveexec_b64 s[34:35], s[6:7]
	s_cbranch_execz .LBB11_25
; %bb.22:                               ;   in Loop: Header=BB11_20 Depth=1
	v_mov_b32_e32 v2, s27
	v_add_co_u32_e32 v4, vcc, s26, v16
	v_addc_co_u32_e32 v5, vcc, v17, v2, vcc
	s_mov_b64 s[36:37], 0
	v_mov_b32_e32 v6, 0
	v_mov_b32_e32 v7, v18
	;; [unrolled: 1-line block ×4, first 2 shown]
.LBB11_23:                              ;   Parent Loop BB11_20 Depth=1
                                        ; =>  This Inner Loop Header: Depth=2
	global_load_dword v9, v[4:5], off
	ds_read_b32 v21, v8
	v_add_co_u32_e32 v4, vcc, 0x200, v4
	v_add_u32_e32 v7, -4, v7
	v_addc_co_u32_e32 v5, vcc, 0, v5, vcc
	v_cmp_eq_u32_e32 vcc, 0, v7
	v_add_u32_e32 v2, 0x80, v2
	v_add_u32_e32 v8, 0x200, v8
	s_or_b64 s[36:37], vcc, s[36:37]
	s_waitcnt vmcnt(0) lgkmcnt(0)
	v_mul_f32_e32 v9, v21, v9
	v_add_f32_e32 v6, v6, v9
	s_andn2_b64 exec, exec, s[36:37]
	s_cbranch_execnz .LBB11_23
; %bb.24:                               ;   in Loop: Header=BB11_20 Depth=1
	s_or_b64 exec, exec, s[36:37]
.LBB11_25:                              ;   in Loop: Header=BB11_20 Depth=1
	s_or_b64 exec, exec, s[34:35]
	s_and_saveexec_b64 s[34:35], s[8:9]
	s_cbranch_execz .LBB11_29
; %bb.26:                               ;   in Loop: Header=BB11_20 Depth=1
	s_add_u32 s25, s42, s26
	v_lshlrev_b64 v[4:5], 2, v[2:3]
	s_addc_u32 s36, s43, s27
	v_mov_b32_e32 v8, s36
	v_add_co_u32_e32 v4, vcc, s25, v4
	v_lshlrev_b32_e32 v7, 2, v2
	v_addc_co_u32_e32 v5, vcc, v8, v5, vcc
	s_mov_b64 s[36:37], 0
.LBB11_27:                              ;   Parent Loop BB11_20 Depth=1
                                        ; =>  This Inner Loop Header: Depth=2
	global_load_dword v21, v[4:5], off offset:-2048
	global_load_dword v28, v[4:5], off offset:-1536
	;; [unrolled: 1-line block ×4, first 2 shown]
	global_load_dword v31, v[4:5], off
	global_load_dword v32, v[4:5], off offset:512
	global_load_dword v33, v[4:5], off offset:1024
	;; [unrolled: 1-line block ×3, first 2 shown]
	ds_read2st64_b32 v[8:9], v7 offset1:2
	ds_read2st64_b32 v[22:23], v7 offset0:4 offset1:6
	ds_read2st64_b32 v[24:25], v7 offset0:8 offset1:10
	ds_read2st64_b32 v[26:27], v7 offset0:12 offset1:14
	v_add_co_u32_e32 v4, vcc, 0x1000, v4
	v_add_u32_e32 v2, 0x400, v2
	v_addc_co_u32_e32 v5, vcc, 0, v5, vcc
	v_cmp_le_i32_e32 vcc, s28, v2
	v_add_u32_e32 v7, 0x1000, v7
	s_or_b64 s[36:37], vcc, s[36:37]
	s_waitcnt vmcnt(7) lgkmcnt(3)
	v_mul_f32_e32 v8, v8, v21
	s_waitcnt vmcnt(6)
	v_mul_f32_e32 v9, v9, v28
	v_add_f32_e32 v6, v6, v8
	s_waitcnt vmcnt(5) lgkmcnt(2)
	v_mul_f32_e32 v21, v22, v29
	v_add_f32_e32 v6, v6, v9
	s_waitcnt vmcnt(4)
	v_mul_f32_e32 v22, v23, v30
	v_add_f32_e32 v6, v6, v21
	s_waitcnt vmcnt(3) lgkmcnt(1)
	v_mul_f32_e32 v23, v24, v31
	v_add_f32_e32 v6, v6, v22
	s_waitcnt vmcnt(2)
	v_mul_f32_e32 v24, v25, v32
	v_add_f32_e32 v6, v6, v23
	s_waitcnt vmcnt(1) lgkmcnt(0)
	v_mul_f32_e32 v25, v26, v33
	v_add_f32_e32 v6, v6, v24
	s_waitcnt vmcnt(0)
	v_mul_f32_e32 v26, v27, v34
	v_add_f32_e32 v6, v6, v25
	v_add_f32_e32 v6, v6, v26
	s_andn2_b64 exec, exec, s[36:37]
	s_cbranch_execnz .LBB11_27
; %bb.28:                               ;   in Loop: Header=BB11_20 Depth=1
	s_or_b64 exec, exec, s[36:37]
.LBB11_29:                              ;   in Loop: Header=BB11_20 Depth=1
	s_or_b64 exec, exec, s[34:35]
.LBB11_30:                              ;   in Loop: Header=BB11_20 Depth=1
	s_or_b64 exec, exec, s[30:31]
	s_and_b64 vcc, exec, s[22:23]
	s_cbranch_vccz .LBB11_37
; %bb.31:                               ;   in Loop: Header=BB11_20 Depth=1
	v_cmp_ne_u32_e32 vcc, 63, v20
	v_addc_co_u32_e32 v2, vcc, 0, v19, vcc
	v_lshlrev_b32_e32 v2, 2, v2
	ds_bpermute_b32 v2, v2, v6
	v_cmp_gt_u32_e32 vcc, 62, v20
	v_cndmask_b32_e64 v4, 0, 1, vcc
	v_lshlrev_b32_e32 v4, 1, v4
	v_add_lshl_u32 v4, v4, v19, 2
	s_waitcnt lgkmcnt(0)
	v_add_f32_e32 v2, v6, v2
	ds_bpermute_b32 v4, v4, v2
	v_cmp_gt_u32_e32 vcc, 60, v20
	v_cndmask_b32_e64 v5, 0, 1, vcc
	v_cmp_gt_u32_e32 vcc, 56, v20
	s_waitcnt lgkmcnt(0)
	v_add_f32_e32 v2, v2, v4
	v_lshlrev_b32_e32 v4, 2, v5
	v_add_lshl_u32 v4, v4, v19, 2
	ds_bpermute_b32 v4, v4, v2
	v_cndmask_b32_e64 v5, 0, 1, vcc
	v_cmp_gt_u32_e32 vcc, 48, v20
	s_waitcnt lgkmcnt(0)
	v_add_f32_e32 v2, v2, v4
	v_lshlrev_b32_e32 v4, 3, v5
	v_add_lshl_u32 v4, v4, v19, 2
	ds_bpermute_b32 v4, v4, v2
	;; [unrolled: 7-line block ×3, first 2 shown]
	v_cndmask_b32_e64 v5, 0, 1, vcc
	s_waitcnt lgkmcnt(0)
	v_add_f32_e32 v2, v2, v4
	v_lshlrev_b32_e32 v4, 5, v5
	v_add_lshl_u32 v4, v4, v19, 2
	ds_bpermute_b32 v4, v4, v2
	s_waitcnt lgkmcnt(0)
	v_add_f32_e32 v4, v2, v4
	s_and_saveexec_b64 s[30:31], s[2:3]
	s_cbranch_execz .LBB11_33
; %bb.32:                               ;   in Loop: Header=BB11_20 Depth=1
	ds_write_b32 v10, v4 offset:8192
.LBB11_33:                              ;   in Loop: Header=BB11_20 Depth=1
	s_or_b64 exec, exec, s[30:31]
	s_mov_b64 s[34:35], 0
	s_mov_b64 s[30:31], 0
	s_waitcnt lgkmcnt(0)
	s_barrier
	s_waitcnt lgkmcnt(0)
                                        ; implicit-def: $vgpr2
	s_and_saveexec_b64 s[36:37], s[4:5]
	s_xor_b64 s[36:37], exec, s[36:37]
	s_cbranch_execz .LBB11_35
; %bb.34:                               ;   in Loop: Header=BB11_20 Depth=1
	ds_read_b32 v2, v3 offset:8196
	s_mov_b64 s[30:31], exec
	s_waitcnt lgkmcnt(0)
	v_add_f32_e32 v2, v4, v2
.LBB11_35:                              ;   in Loop: Header=BB11_20 Depth=1
	s_or_b64 exec, exec, s[36:37]
	s_and_b64 vcc, exec, s[34:35]
	s_cbranch_vccnz .LBB11_38
.LBB11_36:                              ;   in Loop: Header=BB11_20 Depth=1
	v_mov_b32_e32 v6, v2
	s_and_saveexec_b64 s[34:35], s[30:31]
	s_cbranch_execnz .LBB11_39
	s_branch .LBB11_40
.LBB11_37:                              ;   in Loop: Header=BB11_20 Depth=1
	s_mov_b64 s[30:31], 0
                                        ; implicit-def: $vgpr2
	s_cbranch_execz .LBB11_36
.LBB11_38:                              ;   in Loop: Header=BB11_20 Depth=1
	s_andn2_b64 s[30:31], s[30:31], exec
	s_and_b64 s[34:35], s[4:5], exec
	s_or_b64 s[30:31], s[30:31], s[34:35]
	s_and_saveexec_b64 s[34:35], s[30:31]
	s_cbranch_execz .LBB11_40
.LBB11_39:                              ;   in Loop: Header=BB11_20 Depth=1
	ds_write_b32 v3, v6 offset:8192
.LBB11_40:                              ;   in Loop: Header=BB11_20 Depth=1
	s_or_b64 exec, exec, s[34:35]
	s_waitcnt lgkmcnt(0)
	s_barrier
	s_and_saveexec_b64 s[30:31], s[0:1]
	s_cbranch_execz .LBB11_19
; %bb.41:                               ;   in Loop: Header=BB11_20 Depth=1
	global_load_dword v2, v3, s[20:21]
	ds_read_b32 v4, v3 offset:8192
	s_mov_b64 s[36:37], -1
	v_mov_b32_e32 v6, v0
	s_waitcnt vmcnt(0) lgkmcnt(0)
	v_mul_f32_e64 v4, v4, -v2
	v_mov_b32_e32 v2, v14
	s_and_saveexec_b64 s[34:35], s[10:11]
	s_cbranch_execz .LBB11_52
; %bb.42:                               ;   in Loop: Header=BB11_20 Depth=1
	s_mul_i32 s25, s18, s19
	v_mov_b32_e32 v5, v4
	v_mov_b32_e32 v9, 0
	v_pk_mov_b32 v[6:7], v[0:1], v[0:1] op_sel:[0,1]
	s_and_saveexec_b64 s[36:37], s[12:13]
	s_cbranch_execz .LBB11_46
; %bb.43:                               ;   in Loop: Header=BB11_20 Depth=1
	s_mov_b32 s44, 0
	s_mov_b64 s[38:39], 0
	v_mov_b32_e32 v2, v13
	v_mov_b32_e32 v8, v14
	v_pk_mov_b32 v[6:7], v[0:1], v[0:1] op_sel:[0,1]
.LBB11_44:                              ;   Parent Loop BB11_20 Depth=1
                                        ; =>  This Inner Loop Header: Depth=2
	v_add_u32_e32 v22, s25, v6
	v_ashrrev_i32_e32 v23, 31, v22
	v_add_u32_e32 v24, s25, v7
	v_lshlrev_b64 v[26:27], 2, v[22:23]
	v_ashrrev_i32_e32 v25, 31, v24
	v_add_co_u32_e32 v26, vcc, s33, v26
	v_lshlrev_b64 v[28:29], 2, v[24:25]
	v_addc_co_u32_e32 v27, vcc, v15, v27, vcc
	v_add_co_u32_e32 v28, vcc, s33, v28
	v_addc_co_u32_e32 v29, vcc, v15, v29, vcc
	global_load_dword v30, v[26:27], off
	global_load_dword v31, v[28:29], off
	ds_read2st64_b32 v[32:33], v8 offset1:2
	v_add_u32_e32 v34, 0x100, v22
	v_ashrrev_i32_e32 v35, 31, v34
	v_add_u32_e32 v36, 0x100, v24
	v_lshlrev_b64 v[34:35], 2, v[34:35]
	v_ashrrev_i32_e32 v37, 31, v36
	v_add_co_u32_e32 v34, vcc, s33, v34
	v_lshlrev_b64 v[36:37], 2, v[36:37]
	v_addc_co_u32_e32 v35, vcc, v15, v35, vcc
	v_add_co_u32_e32 v36, vcc, s33, v36
	v_addc_co_u32_e32 v37, vcc, v15, v37, vcc
	v_add_u32_e32 v2, -4, v2
	s_add_i32 s44, s44, 8
	v_add_u32_e32 v7, 0x400, v7
	v_add_u32_e32 v6, 0x400, v6
	v_mov_b32_e32 v9, s44
	s_waitcnt vmcnt(0) lgkmcnt(0)
	v_pk_fma_f32 v[30:31], v[4:5], v[32:33], v[30:31]
	global_store_dword v[26:27], v30, off
	global_store_dword v[28:29], v31, off
	global_load_dword v26, v[34:35], off
	s_nop 0
	global_load_dword v27, v[36:37], off
	ds_read2st64_b32 v[28:29], v8 offset0:4 offset1:6
	v_add_u32_e32 v30, 0x200, v22
	v_ashrrev_i32_e32 v31, 31, v30
	v_add_u32_e32 v32, 0x200, v24
	v_lshlrev_b64 v[30:31], 2, v[30:31]
	v_ashrrev_i32_e32 v33, 31, v32
	v_add_co_u32_e32 v30, vcc, s33, v30
	v_lshlrev_b64 v[32:33], 2, v[32:33]
	v_addc_co_u32_e32 v31, vcc, v15, v31, vcc
	v_add_co_u32_e32 v32, vcc, s33, v32
	v_addc_co_u32_e32 v33, vcc, v15, v33, vcc
	v_add_u32_e32 v22, 0x300, v22
	v_ashrrev_i32_e32 v23, 31, v22
	v_add_u32_e32 v24, 0x300, v24
	v_lshlrev_b64 v[22:23], 2, v[22:23]
	v_ashrrev_i32_e32 v25, 31, v24
	v_add_co_u32_e32 v22, vcc, s33, v22
	v_lshlrev_b64 v[24:25], 2, v[24:25]
	v_addc_co_u32_e32 v23, vcc, v15, v23, vcc
	v_add_co_u32_e32 v24, vcc, s33, v24
	v_addc_co_u32_e32 v25, vcc, v15, v25, vcc
	v_cmp_eq_u32_e32 vcc, 0, v2
	s_or_b64 s[38:39], vcc, s[38:39]
	s_waitcnt vmcnt(0) lgkmcnt(0)
	v_pk_fma_f32 v[26:27], v[4:5], v[28:29], v[26:27]
	global_store_dword v[34:35], v26, off
	global_store_dword v[36:37], v27, off
	global_load_dword v26, v[30:31], off
	s_nop 0
	global_load_dword v27, v[32:33], off
	ds_read2st64_b32 v[28:29], v8 offset0:8 offset1:10
	s_waitcnt vmcnt(0) lgkmcnt(0)
	v_pk_fma_f32 v[26:27], v[4:5], v[28:29], v[26:27]
	global_store_dword v[30:31], v26, off
	global_store_dword v[32:33], v27, off
	global_load_dword v26, v[22:23], off
	s_nop 0
	global_load_dword v27, v[24:25], off
	ds_read2st64_b32 v[28:29], v8 offset0:12 offset1:14
	v_add_u32_e32 v8, 0x1000, v8
	s_waitcnt vmcnt(0) lgkmcnt(0)
	v_pk_fma_f32 v[26:27], v[4:5], v[28:29], v[26:27]
	global_store_dword v[22:23], v26, off
	global_store_dword v[24:25], v27, off
	s_andn2_b64 exec, exec, s[38:39]
	s_cbranch_execnz .LBB11_44
; %bb.45:                               ;   in Loop: Header=BB11_20 Depth=1
	s_or_b64 exec, exec, s[38:39]
.LBB11_46:                              ;   in Loop: Header=BB11_20 Depth=1
	s_or_b64 exec, exec, s[36:37]
	s_and_saveexec_b64 s[36:37], s[14:15]
	s_cbranch_execz .LBB11_49
; %bb.47:                               ;   in Loop: Header=BB11_20 Depth=1
	v_lshl_or_b32 v2, v9, 9, v14
	s_mov_b64 s[38:39], 0
	v_mov_b32_e32 v8, v12
.LBB11_48:                              ;   Parent Loop BB11_20 Depth=1
                                        ; =>  This Inner Loop Header: Depth=2
	v_add_u32_e32 v22, s25, v6
	v_ashrrev_i32_e32 v23, 31, v22
	v_add_u32_e32 v24, s25, v7
	v_lshlrev_b64 v[22:23], 2, v[22:23]
	v_mov_b32_e32 v9, s40
	v_ashrrev_i32_e32 v25, 31, v24
	v_add_co_u32_e32 v22, vcc, s33, v22
	v_lshlrev_b64 v[24:25], 2, v[24:25]
	v_addc_co_u32_e32 v23, vcc, v9, v23, vcc
	v_add_co_u32_e32 v24, vcc, s33, v24
	v_addc_co_u32_e32 v25, vcc, v9, v25, vcc
	global_load_dword v26, v[22:23], off
	global_load_dword v27, v[24:25], off
	ds_read2st64_b32 v[28:29], v2 offset1:2
	v_add_u32_e32 v8, -1, v8
	v_cmp_eq_u32_e32 vcc, 0, v8
	v_add_u32_e32 v7, 0x100, v7
	v_add_u32_e32 v6, 0x100, v6
	;; [unrolled: 1-line block ×3, first 2 shown]
	s_or_b64 s[38:39], vcc, s[38:39]
	s_waitcnt vmcnt(0) lgkmcnt(0)
	v_pk_fma_f32 v[26:27], v[4:5], v[28:29], v[26:27]
	global_store_dword v[22:23], v26, off
	global_store_dword v[24:25], v27, off
	s_andn2_b64 exec, exec, s[38:39]
	s_cbranch_execnz .LBB11_48
.LBB11_49:                              ;   in Loop: Header=BB11_20 Depth=1
	s_or_b64 exec, exec, s[36:37]
	s_mov_b64 s[36:37], 0
                                        ; implicit-def: $vgpr2
	s_and_saveexec_b64 s[38:39], s[16:17]
	s_xor_b64 s[38:39], exec, s[38:39]
; %bb.50:                               ;   in Loop: Header=BB11_20 Depth=1
	s_mov_b64 s[36:37], exec
	v_lshlrev_b32_e32 v2, 2, v11
; %bb.51:                               ;   in Loop: Header=BB11_20 Depth=1
	s_or_b64 exec, exec, s[38:39]
	s_orn2_b64 s[36:37], s[36:37], exec
	v_mov_b32_e32 v6, v11
.LBB11_52:                              ;   in Loop: Header=BB11_20 Depth=1
	s_or_b64 exec, exec, s[34:35]
	s_and_b64 exec, exec, s[36:37]
	s_cbranch_execz .LBB11_19
; %bb.53:                               ;   in Loop: Header=BB11_20 Depth=1
	v_ashrrev_i32_e32 v7, 31, v6
	s_add_u32 s25, s33, s26
	v_lshlrev_b64 v[8:9], 2, v[6:7]
	s_addc_u32 s26, s40, s27
	v_mov_b32_e32 v5, s26
	v_add_co_u32_e32 v8, vcc, s25, v8
	v_addc_co_u32_e32 v9, vcc, v5, v9, vcc
	s_mov_b64 s[26:27], 0
.LBB11_54:                              ;   Parent Loop BB11_20 Depth=1
                                        ; =>  This Inner Loop Header: Depth=2
	global_load_dword v5, v[8:9], off
	ds_read_b32 v7, v2
	v_add_u32_e32 v6, 0x80, v6
	v_cmp_le_i32_e32 vcc, s28, v6
	s_or_b64 s[26:27], vcc, s[26:27]
	v_add_u32_e32 v2, 0x200, v2
	s_waitcnt vmcnt(0) lgkmcnt(0)
	v_fmac_f32_e32 v5, v4, v7
	global_store_dword v[8:9], v5, off
	v_add_co_u32_e32 v8, vcc, 0x200, v8
	v_addc_co_u32_e32 v9, vcc, 0, v9, vcc
	s_andn2_b64 exec, exec, s[26:27]
	s_cbranch_execnz .LBB11_54
	s_branch .LBB11_19
.LBB11_55:
	s_endpgm
	.section	.rodata,"a",@progbits
	.p2align	6, 0x0
	.amdhsa_kernel _ZN9rocsolver6v33100L22larf_left_kernel_smallILi128EfiPKPfEEvT1_S5_T2_lS5_lPKT0_lS6_lS5_l
		.amdhsa_group_segment_fixed_size 8704
		.amdhsa_private_segment_fixed_size 0
		.amdhsa_kernarg_size 88
		.amdhsa_user_sgpr_count 6
		.amdhsa_user_sgpr_private_segment_buffer 1
		.amdhsa_user_sgpr_dispatch_ptr 0
		.amdhsa_user_sgpr_queue_ptr 0
		.amdhsa_user_sgpr_kernarg_segment_ptr 1
		.amdhsa_user_sgpr_dispatch_id 0
		.amdhsa_user_sgpr_flat_scratch_init 0
		.amdhsa_user_sgpr_kernarg_preload_length 0
		.amdhsa_user_sgpr_kernarg_preload_offset 0
		.amdhsa_user_sgpr_private_segment_size 0
		.amdhsa_uses_dynamic_stack 0
		.amdhsa_system_sgpr_private_segment_wavefront_offset 0
		.amdhsa_system_sgpr_workgroup_id_x 1
		.amdhsa_system_sgpr_workgroup_id_y 1
		.amdhsa_system_sgpr_workgroup_id_z 0
		.amdhsa_system_sgpr_workgroup_info 0
		.amdhsa_system_vgpr_workitem_id 0
		.amdhsa_next_free_vgpr 38
		.amdhsa_next_free_sgpr 45
		.amdhsa_accum_offset 40
		.amdhsa_reserve_vcc 1
		.amdhsa_reserve_flat_scratch 0
		.amdhsa_float_round_mode_32 0
		.amdhsa_float_round_mode_16_64 0
		.amdhsa_float_denorm_mode_32 3
		.amdhsa_float_denorm_mode_16_64 3
		.amdhsa_dx10_clamp 1
		.amdhsa_ieee_mode 1
		.amdhsa_fp16_overflow 0
		.amdhsa_tg_split 0
		.amdhsa_exception_fp_ieee_invalid_op 0
		.amdhsa_exception_fp_denorm_src 0
		.amdhsa_exception_fp_ieee_div_zero 0
		.amdhsa_exception_fp_ieee_overflow 0
		.amdhsa_exception_fp_ieee_underflow 0
		.amdhsa_exception_fp_ieee_inexact 0
		.amdhsa_exception_int_div_zero 0
	.end_amdhsa_kernel
	.section	.text._ZN9rocsolver6v33100L22larf_left_kernel_smallILi128EfiPKPfEEvT1_S5_T2_lS5_lPKT0_lS6_lS5_l,"axG",@progbits,_ZN9rocsolver6v33100L22larf_left_kernel_smallILi128EfiPKPfEEvT1_S5_T2_lS5_lPKT0_lS6_lS5_l,comdat
.Lfunc_end11:
	.size	_ZN9rocsolver6v33100L22larf_left_kernel_smallILi128EfiPKPfEEvT1_S5_T2_lS5_lPKT0_lS6_lS5_l, .Lfunc_end11-_ZN9rocsolver6v33100L22larf_left_kernel_smallILi128EfiPKPfEEvT1_S5_T2_lS5_lPKT0_lS6_lS5_l
                                        ; -- End function
	.section	.AMDGPU.csdata,"",@progbits
; Kernel info:
; codeLenInByte = 3324
; NumSgprs: 49
; NumVgprs: 38
; NumAgprs: 0
; TotalNumVgprs: 38
; ScratchSize: 0
; MemoryBound: 0
; FloatMode: 240
; IeeeMode: 1
; LDSByteSize: 8704 bytes/workgroup (compile time only)
; SGPRBlocks: 6
; VGPRBlocks: 4
; NumSGPRsForWavesPerEU: 49
; NumVGPRsForWavesPerEU: 38
; AccumOffset: 40
; Occupancy: 4
; WaveLimiterHint : 1
; COMPUTE_PGM_RSRC2:SCRATCH_EN: 0
; COMPUTE_PGM_RSRC2:USER_SGPR: 6
; COMPUTE_PGM_RSRC2:TRAP_HANDLER: 0
; COMPUTE_PGM_RSRC2:TGID_X_EN: 1
; COMPUTE_PGM_RSRC2:TGID_Y_EN: 1
; COMPUTE_PGM_RSRC2:TGID_Z_EN: 0
; COMPUTE_PGM_RSRC2:TIDIG_COMP_CNT: 0
; COMPUTE_PGM_RSRC3_GFX90A:ACCUM_OFFSET: 9
; COMPUTE_PGM_RSRC3_GFX90A:TG_SPLIT: 0
	.section	.text._ZN9rocsolver6v33100L22larf_left_kernel_smallILi256EfiPKPfEEvT1_S5_T2_lS5_lPKT0_lS6_lS5_l,"axG",@progbits,_ZN9rocsolver6v33100L22larf_left_kernel_smallILi256EfiPKPfEEvT1_S5_T2_lS5_lPKT0_lS6_lS5_l,comdat
	.globl	_ZN9rocsolver6v33100L22larf_left_kernel_smallILi256EfiPKPfEEvT1_S5_T2_lS5_lPKT0_lS6_lS5_l ; -- Begin function _ZN9rocsolver6v33100L22larf_left_kernel_smallILi256EfiPKPfEEvT1_S5_T2_lS5_lPKT0_lS6_lS5_l
	.p2align	8
	.type	_ZN9rocsolver6v33100L22larf_left_kernel_smallILi256EfiPKPfEEvT1_S5_T2_lS5_lPKT0_lS6_lS5_l,@function
_ZN9rocsolver6v33100L22larf_left_kernel_smallILi256EfiPKPfEEvT1_S5_T2_lS5_lPKT0_lS6_lS5_l: ; @_ZN9rocsolver6v33100L22larf_left_kernel_smallILi256EfiPKPfEEvT1_S5_T2_lS5_lPKT0_lS6_lS5_l
; %bb.0:
	s_load_dwordx8 s[20:27], s[4:5], 0x28
	s_load_dwordx2 s[28:29], s[4:5], 0x0
	s_mov_b32 s18, s7
	s_ashr_i32 s7, s6, 31
	s_lshl_b64 s[2:3], s[6:7], 3
	s_waitcnt lgkmcnt(0)
	s_add_u32 s0, s24, s2
	s_addc_u32 s1, s25, s3
	s_load_dwordx2 s[10:11], s[0:1], 0x0
	v_cmp_gt_i32_e64 s[0:1], s28, v0
	v_xad_u32 v4, v0, -1, s28
	s_and_saveexec_b64 s[12:13], s[0:1]
	s_cbranch_execz .LBB12_17
; %bb.1:
	s_load_dwordx4 s[36:39], s[4:5], 0x8
	s_load_dword s24, s[4:5], 0x18
	s_movk_i32 s8, 0x16ff
	v_cmp_lt_u32_e32 vcc, s8, v4
                                        ; implicit-def: $vgpr1
                                        ; implicit-def: $sgpr31
	s_waitcnt lgkmcnt(0)
	s_add_u32 s2, s36, s2
	s_addc_u32 s3, s37, s3
	s_load_dwordx2 s[2:3], s[2:3], 0x0
	s_lshl_b64 s[8:9], s[38:39], 2
	s_waitcnt lgkmcnt(0)
	s_add_u32 s19, s2, s8
	s_addc_u32 s25, s3, s9
	s_sub_i32 s2, 1, s28
	s_mul_i32 s2, s2, s24
	s_cmp_lt_i32 s24, 1
	s_cselect_b32 s30, s2, 0
	s_mov_b64 s[2:3], 0
	s_and_saveexec_b64 s[8:9], vcc
	s_xor_b64 s[14:15], exec, s[8:9]
	s_cbranch_execnz .LBB12_4
; %bb.2:
	s_or_saveexec_b64 s[8:9], s[14:15]
	v_mov_b32_e32 v5, s31
	s_xor_b64 exec, exec, s[8:9]
	s_cbranch_execnz .LBB12_14
.LBB12_3:
	s_or_b64 exec, exec, s[8:9]
	s_and_b64 exec, exec, s[2:3]
	s_cbranch_execnz .LBB12_15
	s_branch .LBB12_17
.LBB12_4:
	s_lshl_b32 s31, s24, 8
	s_sub_i32 s8, 0, s31
	s_cmp_lt_i32 s31, 0
	s_cselect_b64 vcc, -1, 0
	s_and_b64 s[2:3], vcc, exec
	v_lshrrev_b32_e32 v5, 8, v4
	s_cselect_b32 s8, s8, s31
	v_mul_lo_u32 v1, v0, s24
	v_mul_hi_u32 v2, s8, v5
	v_add_u32_e32 v1, s30, v1
	v_cmp_eq_u32_e64 s[2:3], 0, v2
	v_mul_lo_u32 v2, s8, v5
	v_add_u32_e32 v3, v1, v2
	v_sub_u32_e32 v2, v1, v2
	v_cmp_gt_i32_e64 s[8:9], v2, v1
	v_cndmask_b32_e64 v2, 0, 1, s[8:9]
	v_cmp_lt_i32_e64 s[8:9], v3, v1
	v_cndmask_b32_e64 v1, 0, 1, s[8:9]
	v_cndmask_b32_e32 v1, v1, v2, vcc
	v_and_b32_e32 v1, 1, v1
	v_cmp_eq_u32_e32 vcc, 1, v1
	s_xor_b64 s[16:17], vcc, -1
	s_mov_b64 s[8:9], -1
	s_and_b64 s[16:17], s[16:17], s[2:3]
	v_mov_b32_e32 v1, v0
	s_and_saveexec_b64 s[2:3], s[16:17]
	s_cbranch_execz .LBB12_13
; %bb.5:
	v_add_u32_e32 v2, -1, v5
	v_or_b32_e32 v1, 0x100, v0
	v_lshrrev_b32_e32 v3, 1, v2
	v_add_u32_e32 v6, 1, v3
	v_cmp_lt_u32_e32 vcc, 5, v2
	v_mov_b32_e32 v10, 0
	v_pk_mov_b32 v[2:3], v[0:1], v[0:1] op_sel:[0,1]
	s_and_saveexec_b64 s[8:9], vcc
	s_cbranch_execz .LBB12_9
; %bb.6:
	v_and_b32_e32 v7, -4, v6
	v_lshlrev_b32_e32 v8, 2, v0
	s_mov_b32 s33, 0
	s_mov_b64 s[16:17], 0
	v_mov_b32_e32 v9, s25
	v_pk_mov_b32 v[2:3], v[0:1], v[0:1] op_sel:[0,1]
.LBB12_7:                               ; =>This Inner Loop Header: Depth=1
	v_mul_lo_u32 v10, v2, s24
	v_add_u32_e32 v11, 0x200, v2
	v_add_u32_e32 v10, s30, v10
	v_mul_lo_u32 v1, v3, s24
	v_mul_lo_u32 v18, v11, s24
	v_ashrrev_i32_e32 v11, 31, v10
	v_add_u32_e32 v13, 0x200, v3
	v_add_u32_e32 v12, s30, v1
	v_lshlrev_b64 v[10:11], 2, v[10:11]
	v_add_u32_e32 v14, 0x400, v2
	v_add_u32_e32 v15, 0x400, v3
	v_mul_lo_u32 v1, v13, s24
	v_ashrrev_i32_e32 v13, 31, v12
	v_add_co_u32_e32 v10, vcc, s19, v10
	v_mul_lo_u32 v15, v15, s24
	v_mul_lo_u32 v19, v14, s24
	v_add_u32_e32 v14, s30, v18
	v_lshlrev_b64 v[12:13], 2, v[12:13]
	v_addc_co_u32_e32 v11, vcc, v9, v11, vcc
	v_add_u32_e32 v16, 0x600, v2
	v_add_u32_e32 v17, 0x600, v3
	;; [unrolled: 1-line block ×3, first 2 shown]
	v_ashrrev_i32_e32 v15, 31, v14
	v_add_co_u32_e32 v12, vcc, s19, v12
	v_mul_lo_u32 v17, v17, s24
	v_mul_lo_u32 v21, v16, s24
	v_add_u32_e32 v16, s30, v1
	v_addc_co_u32_e32 v13, vcc, v9, v13, vcc
	v_lshlrev_b64 v[14:15], 2, v[14:15]
	v_add_u32_e32 v24, s30, v17
	v_ashrrev_i32_e32 v17, 31, v16
	v_add_co_u32_e32 v14, vcc, s19, v14
	v_add_u32_e32 v18, s30, v19
	v_lshlrev_b64 v[16:17], 2, v[16:17]
	v_addc_co_u32_e32 v15, vcc, v9, v15, vcc
	v_ashrrev_i32_e32 v19, 31, v18
	v_add_co_u32_e32 v16, vcc, s19, v16
	v_lshlrev_b64 v[18:19], 2, v[18:19]
	v_addc_co_u32_e32 v17, vcc, v9, v17, vcc
	v_add_u32_e32 v22, s30, v21
	v_ashrrev_i32_e32 v21, 31, v20
	v_add_co_u32_e32 v18, vcc, s19, v18
	v_lshlrev_b64 v[20:21], 2, v[20:21]
	v_addc_co_u32_e32 v19, vcc, v9, v19, vcc
	v_ashrrev_i32_e32 v23, 31, v22
	v_add_co_u32_e32 v20, vcc, s19, v20
	v_lshlrev_b64 v[22:23], 2, v[22:23]
	v_addc_co_u32_e32 v21, vcc, v9, v21, vcc
	;; [unrolled: 4-line block ×3, first 2 shown]
	v_add_co_u32_e32 v24, vcc, s19, v24
	v_addc_co_u32_e32 v25, vcc, v9, v25, vcc
	global_load_dword v1, v[10:11], off
	global_load_dword v26, v[12:13], off
	;; [unrolled: 1-line block ×8, first 2 shown]
	v_add_u32_e32 v7, -4, v7
	s_add_i32 s33, s33, 8
	v_cmp_eq_u32_e32 vcc, 0, v7
	v_add_u32_e32 v3, 0x800, v3
	v_add_u32_e32 v2, 0x800, v2
	v_mov_b32_e32 v10, s33
	s_or_b64 s[16:17], vcc, s[16:17]
	s_waitcnt vmcnt(6)
	ds_write2st64_b32 v8, v1, v26 offset1:4
	s_waitcnt vmcnt(4)
	ds_write2st64_b32 v8, v27, v28 offset0:8 offset1:12
	s_waitcnt vmcnt(2)
	ds_write2st64_b32 v8, v29, v30 offset0:16 offset1:20
	;; [unrolled: 2-line block ×3, first 2 shown]
	v_add_u32_e32 v8, 0x2000, v8
	s_andn2_b64 exec, exec, s[16:17]
	s_cbranch_execnz .LBB12_7
; %bb.8:
	s_or_b64 exec, exec, s[16:17]
.LBB12_9:
	s_or_b64 exec, exec, s[8:9]
	v_and_b32_e32 v1, 3, v6
	v_cmp_ne_u32_e32 vcc, 0, v1
	s_and_saveexec_b64 s[8:9], vcc
	s_cbranch_execz .LBB12_12
; %bb.10:
	v_lshlrev_b32_e32 v6, 2, v0
	v_lshl_or_b32 v6, v10, 10, v6
	s_mov_b64 s[16:17], 0
	v_mov_b32_e32 v7, s25
.LBB12_11:                              ; =>This Inner Loop Header: Depth=1
	v_mul_lo_u32 v8, v2, s24
	v_mul_lo_u32 v9, v3, s24
	v_add_u32_e32 v8, s30, v8
	v_add_u32_e32 v10, s30, v9
	v_ashrrev_i32_e32 v9, 31, v8
	v_lshlrev_b64 v[8:9], 2, v[8:9]
	v_ashrrev_i32_e32 v11, 31, v10
	v_add_co_u32_e32 v8, vcc, s19, v8
	v_lshlrev_b64 v[10:11], 2, v[10:11]
	v_addc_co_u32_e32 v9, vcc, v7, v9, vcc
	v_add_co_u32_e32 v10, vcc, s19, v10
	v_addc_co_u32_e32 v11, vcc, v7, v11, vcc
	global_load_dword v12, v[8:9], off
	global_load_dword v13, v[10:11], off
	v_add_u32_e32 v1, -1, v1
	v_cmp_eq_u32_e32 vcc, 0, v1
	v_add_u32_e32 v3, 0x200, v3
	v_add_u32_e32 v2, 0x200, v2
	s_or_b64 s[16:17], vcc, s[16:17]
	s_waitcnt vmcnt(0)
	ds_write2st64_b32 v6, v12, v13 offset1:4
	v_add_u32_e32 v6, 0x800, v6
	s_andn2_b64 exec, exec, s[16:17]
	s_cbranch_execnz .LBB12_11
.LBB12_12:
	s_or_b64 exec, exec, s[8:9]
	v_add_u32_e32 v2, 1, v5
	v_and_b32_e32 v3, 0x1fffffe, v2
	v_cmp_ne_u32_e32 vcc, v2, v3
	v_lshl_or_b32 v1, v3, 8, v0
	s_orn2_b64 s[8:9], vcc, exec
.LBB12_13:
	s_or_b64 exec, exec, s[2:3]
	s_and_b64 s[2:3], s[8:9], exec
	s_or_saveexec_b64 s[8:9], s[14:15]
	v_mov_b32_e32 v5, s31
	s_xor_b64 exec, exec, s[8:9]
	s_cbranch_execz .LBB12_3
.LBB12_14:
	s_lshl_b32 s14, s24, 8
	v_mov_b32_e32 v5, s14
	s_or_b64 s[2:3], s[2:3], exec
	v_mov_b32_e32 v1, v0
	s_or_b64 exec, exec, s[8:9]
	s_and_b64 exec, exec, s[2:3]
	s_cbranch_execz .LBB12_17
.LBB12_15:
	v_mul_lo_u32 v2, v1, s24
	v_add_u32_e32 v2, s30, v2
	v_lshlrev_b32_e32 v6, 2, v1
	s_mov_b64 s[2:3], 0
	v_mov_b32_e32 v7, s25
.LBB12_16:                              ; =>This Inner Loop Header: Depth=1
	v_ashrrev_i32_e32 v3, 31, v2
	v_lshlrev_b64 v[8:9], 2, v[2:3]
	v_add_co_u32_e32 v8, vcc, s19, v8
	v_addc_co_u32_e32 v9, vcc, v7, v9, vcc
	global_load_dword v3, v[8:9], off
	v_add_u32_e32 v1, 0x100, v1
	v_cmp_le_i32_e32 vcc, s28, v1
	v_add_u32_e32 v2, v2, v5
	s_or_b64 s[2:3], vcc, s[2:3]
	s_waitcnt vmcnt(0)
	ds_write_b32 v6, v3
	v_add_u32_e32 v6, 0x400, v6
	s_andn2_b64 exec, exec, s[2:3]
	s_cbranch_execnz .LBB12_16
.LBB12_17:
	s_or_b64 exec, exec, s[12:13]
	s_cmp_ge_i32 s18, s29
	s_waitcnt lgkmcnt(0)
	s_barrier
	s_cbranch_scc1 .LBB12_55
; %bb.18:
	s_lshl_b64 s[2:3], s[26:27], 2
	s_add_u32 s33, s10, s2
	s_addc_u32 s40, s11, s3
	s_mul_i32 s2, s6, s23
	s_mul_hi_u32 s3, s6, s22
	s_add_i32 s2, s3, s2
	s_mul_i32 s3, s7, s22
	s_add_i32 s3, s2, s3
	s_mul_i32 s2, s6, s22
	s_lshl_b64 s[2:3], s[2:3], 2
	s_load_dword s19, s[4:5], 0x48
	s_add_u32 s22, s20, s2
	v_and_b32_e32 v1, 63, v0
	s_addc_u32 s23, s21, s3
	v_cmp_eq_u32_e64 s[2:3], 0, v1
	v_lshrrev_b32_e32 v1, 8, v4
	v_add_u32_e32 v2, 1, v1
	s_movk_i32 s8, 0x6ff
	s_movk_i32 s10, 0xff
	v_add_u32_e32 v3, -1, v1
	v_cmp_lt_u32_e64 s[8:9], s8, v4
	v_cmp_lt_u32_e64 s[10:11], s10, v4
	v_and_b32_e32 v4, 0x1fffffe, v2
	v_lshlrev_b32_e32 v14, 2, v0
	s_cmp_gt_i32 s28, 1
	v_lshrrev_b32_e32 v1, 1, v3
	v_and_b32_e32 v6, 7, v2
	v_cmp_ne_u32_e64 s[16:17], v2, v4
	v_mov_b32_e32 v2, s40
	v_add_co_u32_e32 v15, vcc, s33, v14
	s_cselect_b64 s[24:25], -1, 0
	v_add_u32_e32 v5, 1, v1
	v_addc_co_u32_e32 v16, vcc, 0, v2, vcc
	s_waitcnt lgkmcnt(0)
	s_lshl_b32 s41, s19, 6
	v_mbcnt_lo_u32_b32 v2, -1, 0
	v_and_b32_e32 v12, 3, v5
	s_add_u32 s42, s33, 0x1c00
	v_mbcnt_hi_u32_b32 v19, -1, v2
	v_lshrrev_b32_e32 v10, 4, v0
	v_cmp_eq_u32_e64 s[4:5], 0, v0
	v_cmp_ne_u32_e64 s[6:7], 0, v6
	v_lshl_or_b32 v11, v4, 8, v0
	v_or_b32_e32 v1, 0x100, v0
	v_cmp_lt_u32_e64 s[12:13], 5, v3
	v_and_b32_e32 v13, -4, v5
	v_cmp_ne_u32_e64 s[14:15], 0, v12
	v_mov_b32_e32 v3, 0
	s_mul_i32 s26, s18, s19
	v_lshlrev_b32_e32 v17, 2, v6
	s_addc_u32 s43, s40, 0
	v_mov_b32_e32 v18, 0x2004
	v_and_b32_e32 v20, 63, v19
	s_branch .LBB12_20
.LBB12_19:                              ;   in Loop: Header=BB12_20 Depth=1
	s_or_b64 exec, exec, s[20:21]
	s_add_i32 s18, s18, 64
	s_add_i32 s26, s26, s41
	s_cmp_ge_i32 s18, s29
	s_cbranch_scc1 .LBB12_55
.LBB12_20:                              ; =>This Loop Header: Depth=1
                                        ;     Child Loop BB12_23 Depth 2
                                        ;     Child Loop BB12_27 Depth 2
                                        ;     Child Loop BB12_44 Depth 2
                                        ;     Child Loop BB12_48 Depth 2
                                        ;     Child Loop BB12_54 Depth 2
	s_ashr_i32 s27, s26, 31
	s_lshl_b64 s[30:31], s[26:27], 2
	v_mov_b32_e32 v6, 0
	s_and_saveexec_b64 s[34:35], s[0:1]
	s_cbranch_execz .LBB12_30
; %bb.21:                               ;   in Loop: Header=BB12_20 Depth=1
	v_mov_b32_e32 v6, 0
	v_mov_b32_e32 v2, v0
	s_and_saveexec_b64 s[20:21], s[6:7]
	s_cbranch_execz .LBB12_25
; %bb.22:                               ;   in Loop: Header=BB12_20 Depth=1
	v_mov_b32_e32 v2, s31
	v_add_co_u32_e32 v4, vcc, s30, v15
	v_addc_co_u32_e32 v5, vcc, v16, v2, vcc
	s_mov_b64 s[36:37], 0
	v_mov_b32_e32 v6, 0
	v_mov_b32_e32 v7, v17
	;; [unrolled: 1-line block ×4, first 2 shown]
.LBB12_23:                              ;   Parent Loop BB12_20 Depth=1
                                        ; =>  This Inner Loop Header: Depth=2
	global_load_dword v9, v[4:5], off
	ds_read_b32 v21, v8
	v_add_co_u32_e32 v4, vcc, 0x400, v4
	v_add_u32_e32 v7, -4, v7
	v_addc_co_u32_e32 v5, vcc, 0, v5, vcc
	v_cmp_eq_u32_e32 vcc, 0, v7
	v_add_u32_e32 v2, 0x100, v2
	v_add_u32_e32 v8, 0x400, v8
	s_or_b64 s[36:37], vcc, s[36:37]
	s_waitcnt vmcnt(0) lgkmcnt(0)
	v_mul_f32_e32 v9, v21, v9
	v_add_f32_e32 v6, v6, v9
	s_andn2_b64 exec, exec, s[36:37]
	s_cbranch_execnz .LBB12_23
; %bb.24:                               ;   in Loop: Header=BB12_20 Depth=1
	s_or_b64 exec, exec, s[36:37]
.LBB12_25:                              ;   in Loop: Header=BB12_20 Depth=1
	s_or_b64 exec, exec, s[20:21]
	s_and_saveexec_b64 s[36:37], s[8:9]
	s_cbranch_execz .LBB12_29
; %bb.26:                               ;   in Loop: Header=BB12_20 Depth=1
	s_add_u32 s20, s42, s30
	v_lshlrev_b64 v[4:5], 2, v[2:3]
	s_addc_u32 s21, s43, s31
	v_mov_b32_e32 v7, s21
	v_add_co_u32_e32 v4, vcc, s20, v4
	v_addc_co_u32_e32 v5, vcc, v7, v5, vcc
	v_lshlrev_b32_e32 v7, 2, v2
	s_mov_b64 s[38:39], 0
.LBB12_27:                              ;   Parent Loop BB12_20 Depth=1
                                        ; =>  This Inner Loop Header: Depth=2
	v_add_co_u32_e32 v8, vcc, 0xfffff000, v4
	v_addc_co_u32_e32 v9, vcc, -1, v5, vcc
	global_load_dword v21, v[8:9], off offset:-3072
	global_load_dword v28, v[8:9], off offset:-2048
	;; [unrolled: 1-line block ×7, first 2 shown]
	global_load_dword v34, v[4:5], off
	ds_read2st64_b32 v[8:9], v7 offset1:4
	ds_read2st64_b32 v[22:23], v7 offset0:8 offset1:12
	ds_read2st64_b32 v[24:25], v7 offset0:16 offset1:20
	;; [unrolled: 1-line block ×3, first 2 shown]
	v_add_u32_e32 v2, 0x800, v2
	v_cmp_le_i32_e64 s[20:21], s28, v2
	v_add_co_u32_e32 v4, vcc, 0x2000, v4
	v_add_u32_e32 v7, 0x2000, v7
	s_or_b64 s[38:39], s[20:21], s[38:39]
	v_addc_co_u32_e32 v5, vcc, 0, v5, vcc
	s_waitcnt vmcnt(7) lgkmcnt(3)
	v_mul_f32_e32 v8, v8, v21
	s_waitcnt vmcnt(6)
	v_mul_f32_e32 v9, v9, v28
	v_add_f32_e32 v6, v6, v8
	s_waitcnt vmcnt(5) lgkmcnt(2)
	v_mul_f32_e32 v21, v22, v29
	v_add_f32_e32 v6, v6, v9
	s_waitcnt vmcnt(4)
	v_mul_f32_e32 v22, v23, v30
	v_add_f32_e32 v6, v6, v21
	s_waitcnt vmcnt(3) lgkmcnt(1)
	v_mul_f32_e32 v23, v24, v31
	v_add_f32_e32 v6, v6, v22
	;; [unrolled: 6-line block ×3, first 2 shown]
	s_waitcnt vmcnt(0)
	v_mul_f32_e32 v26, v27, v34
	v_add_f32_e32 v6, v6, v25
	v_add_f32_e32 v6, v6, v26
	s_andn2_b64 exec, exec, s[38:39]
	s_cbranch_execnz .LBB12_27
; %bb.28:                               ;   in Loop: Header=BB12_20 Depth=1
	s_or_b64 exec, exec, s[38:39]
.LBB12_29:                              ;   in Loop: Header=BB12_20 Depth=1
	s_or_b64 exec, exec, s[36:37]
.LBB12_30:                              ;   in Loop: Header=BB12_20 Depth=1
	s_or_b64 exec, exec, s[34:35]
	s_and_b64 vcc, exec, s[24:25]
	s_cbranch_vccz .LBB12_37
; %bb.31:                               ;   in Loop: Header=BB12_20 Depth=1
	v_cmp_ne_u32_e32 vcc, 63, v20
	v_addc_co_u32_e32 v2, vcc, 0, v19, vcc
	v_lshlrev_b32_e32 v2, 2, v2
	ds_bpermute_b32 v2, v2, v6
	v_cmp_gt_u32_e32 vcc, 62, v20
	v_cndmask_b32_e64 v4, 0, 1, vcc
	v_lshlrev_b32_e32 v4, 1, v4
	v_add_lshl_u32 v4, v4, v19, 2
	s_waitcnt lgkmcnt(0)
	v_add_f32_e32 v2, v6, v2
	ds_bpermute_b32 v4, v4, v2
	v_cmp_gt_u32_e32 vcc, 60, v20
	v_cndmask_b32_e64 v5, 0, 1, vcc
	v_cmp_gt_u32_e32 vcc, 56, v20
	s_waitcnt lgkmcnt(0)
	v_add_f32_e32 v2, v2, v4
	v_lshlrev_b32_e32 v4, 2, v5
	v_add_lshl_u32 v4, v4, v19, 2
	ds_bpermute_b32 v4, v4, v2
	v_cndmask_b32_e64 v5, 0, 1, vcc
	v_cmp_gt_u32_e32 vcc, 48, v20
	s_waitcnt lgkmcnt(0)
	v_add_f32_e32 v2, v2, v4
	v_lshlrev_b32_e32 v4, 3, v5
	v_add_lshl_u32 v4, v4, v19, 2
	ds_bpermute_b32 v4, v4, v2
	;; [unrolled: 7-line block ×3, first 2 shown]
	v_cndmask_b32_e64 v5, 0, 1, vcc
	s_waitcnt lgkmcnt(0)
	v_add_f32_e32 v2, v2, v4
	v_lshlrev_b32_e32 v4, 5, v5
	v_add_lshl_u32 v4, v4, v19, 2
	ds_bpermute_b32 v4, v4, v2
	s_waitcnt lgkmcnt(0)
	v_add_f32_e32 v4, v2, v4
	s_and_saveexec_b64 s[20:21], s[2:3]
	s_cbranch_execz .LBB12_33
; %bb.32:                               ;   in Loop: Header=BB12_20 Depth=1
	ds_write_b32 v10, v4 offset:8192
.LBB12_33:                              ;   in Loop: Header=BB12_20 Depth=1
	s_or_b64 exec, exec, s[20:21]
	s_mov_b64 s[34:35], 0
	s_mov_b64 s[20:21], 0
	s_waitcnt lgkmcnt(0)
	s_barrier
	s_waitcnt lgkmcnt(0)
                                        ; implicit-def: $vgpr2
	s_and_saveexec_b64 s[36:37], s[4:5]
	s_xor_b64 s[36:37], exec, s[36:37]
	s_cbranch_execz .LBB12_35
; %bb.34:                               ;   in Loop: Header=BB12_20 Depth=1
	ds_read2_b32 v[8:9], v18 offset1:1
	ds_read_b32 v2, v3 offset:8204
	s_mov_b64 s[20:21], exec
	s_waitcnt lgkmcnt(1)
	v_add_f32_e32 v4, v4, v8
	v_add_f32_e32 v4, v4, v9
	s_waitcnt lgkmcnt(0)
	v_add_f32_e32 v2, v4, v2
.LBB12_35:                              ;   in Loop: Header=BB12_20 Depth=1
	s_or_b64 exec, exec, s[36:37]
	s_and_b64 vcc, exec, s[34:35]
	s_cbranch_vccnz .LBB12_38
.LBB12_36:                              ;   in Loop: Header=BB12_20 Depth=1
	v_mov_b32_e32 v6, v2
	s_and_saveexec_b64 s[34:35], s[20:21]
	s_cbranch_execnz .LBB12_39
	s_branch .LBB12_40
.LBB12_37:                              ;   in Loop: Header=BB12_20 Depth=1
	s_mov_b64 s[20:21], 0
                                        ; implicit-def: $vgpr2
	s_cbranch_execz .LBB12_36
.LBB12_38:                              ;   in Loop: Header=BB12_20 Depth=1
	s_andn2_b64 s[20:21], s[20:21], exec
	s_and_b64 s[34:35], s[4:5], exec
	s_or_b64 s[20:21], s[20:21], s[34:35]
	s_and_saveexec_b64 s[34:35], s[20:21]
	s_cbranch_execz .LBB12_40
.LBB12_39:                              ;   in Loop: Header=BB12_20 Depth=1
	ds_write_b32 v3, v6 offset:8192
.LBB12_40:                              ;   in Loop: Header=BB12_20 Depth=1
	s_or_b64 exec, exec, s[34:35]
	s_waitcnt lgkmcnt(0)
	s_barrier
	s_and_saveexec_b64 s[20:21], s[0:1]
	s_cbranch_execz .LBB12_19
; %bb.41:                               ;   in Loop: Header=BB12_20 Depth=1
	global_load_dword v2, v3, s[22:23]
	ds_read_b32 v4, v3 offset:8192
	s_mov_b64 s[36:37], -1
	v_mov_b32_e32 v6, v0
	s_waitcnt vmcnt(0) lgkmcnt(0)
	v_mul_f32_e64 v4, v4, -v2
	v_mov_b32_e32 v2, v14
	s_and_saveexec_b64 s[34:35], s[10:11]
	s_cbranch_execz .LBB12_52
; %bb.42:                               ;   in Loop: Header=BB12_20 Depth=1
	s_mul_i32 s27, s18, s19
	v_mov_b32_e32 v5, v4
	v_mov_b32_e32 v9, 0
	v_pk_mov_b32 v[6:7], v[0:1], v[0:1] op_sel:[0,1]
	s_and_saveexec_b64 s[36:37], s[12:13]
	s_cbranch_execz .LBB12_46
; %bb.43:                               ;   in Loop: Header=BB12_20 Depth=1
	s_mov_b32 s44, 0
	s_mov_b64 s[38:39], 0
	v_mov_b32_e32 v2, v13
	v_mov_b32_e32 v8, v14
	v_pk_mov_b32 v[6:7], v[0:1], v[0:1] op_sel:[0,1]
.LBB12_44:                              ;   Parent Loop BB12_20 Depth=1
                                        ; =>  This Inner Loop Header: Depth=2
	v_add_u32_e32 v22, s27, v6
	v_ashrrev_i32_e32 v23, 31, v22
	v_add_u32_e32 v24, s27, v7
	v_lshlrev_b64 v[26:27], 2, v[22:23]
	v_mov_b32_e32 v9, s40
	v_ashrrev_i32_e32 v25, 31, v24
	v_add_co_u32_e32 v26, vcc, s33, v26
	v_lshlrev_b64 v[28:29], 2, v[24:25]
	v_addc_co_u32_e32 v27, vcc, v9, v27, vcc
	v_add_co_u32_e32 v28, vcc, s33, v28
	v_addc_co_u32_e32 v29, vcc, v9, v29, vcc
	global_load_dword v30, v[26:27], off
	global_load_dword v31, v[28:29], off
	ds_read2st64_b32 v[32:33], v8 offset1:4
	v_add_u32_e32 v34, 0x200, v22
	v_ashrrev_i32_e32 v35, 31, v34
	v_add_u32_e32 v36, 0x200, v24
	v_lshlrev_b64 v[34:35], 2, v[34:35]
	v_ashrrev_i32_e32 v37, 31, v36
	v_add_co_u32_e32 v34, vcc, s33, v34
	v_lshlrev_b64 v[36:37], 2, v[36:37]
	v_addc_co_u32_e32 v35, vcc, v9, v35, vcc
	v_add_co_u32_e32 v36, vcc, s33, v36
	v_addc_co_u32_e32 v37, vcc, v9, v37, vcc
	v_add_u32_e32 v2, -4, v2
	s_add_i32 s44, s44, 8
	v_add_u32_e32 v7, 0x800, v7
	v_add_u32_e32 v6, 0x800, v6
	s_waitcnt vmcnt(0) lgkmcnt(0)
	v_pk_fma_f32 v[30:31], v[4:5], v[32:33], v[30:31]
	global_store_dword v[26:27], v30, off
	global_store_dword v[28:29], v31, off
	global_load_dword v26, v[34:35], off
	s_nop 0
	global_load_dword v27, v[36:37], off
	ds_read2st64_b32 v[28:29], v8 offset0:8 offset1:12
	v_add_u32_e32 v30, 0x400, v22
	v_ashrrev_i32_e32 v31, 31, v30
	v_add_u32_e32 v32, 0x400, v24
	v_lshlrev_b64 v[30:31], 2, v[30:31]
	v_ashrrev_i32_e32 v33, 31, v32
	v_add_co_u32_e32 v30, vcc, s33, v30
	v_lshlrev_b64 v[32:33], 2, v[32:33]
	v_addc_co_u32_e32 v31, vcc, v9, v31, vcc
	v_add_co_u32_e32 v32, vcc, s33, v32
	v_addc_co_u32_e32 v33, vcc, v9, v33, vcc
	v_add_u32_e32 v22, 0x600, v22
	v_ashrrev_i32_e32 v23, 31, v22
	v_add_u32_e32 v24, 0x600, v24
	v_lshlrev_b64 v[22:23], 2, v[22:23]
	v_ashrrev_i32_e32 v25, 31, v24
	v_add_co_u32_e32 v22, vcc, s33, v22
	v_lshlrev_b64 v[24:25], 2, v[24:25]
	v_addc_co_u32_e32 v23, vcc, v9, v23, vcc
	v_add_co_u32_e32 v24, vcc, s33, v24
	v_addc_co_u32_e32 v25, vcc, v9, v25, vcc
	v_cmp_eq_u32_e32 vcc, 0, v2
	v_mov_b32_e32 v9, s44
	s_or_b64 s[38:39], vcc, s[38:39]
	s_waitcnt vmcnt(0) lgkmcnt(0)
	v_pk_fma_f32 v[26:27], v[4:5], v[28:29], v[26:27]
	global_store_dword v[34:35], v26, off
	global_store_dword v[36:37], v27, off
	global_load_dword v26, v[30:31], off
	s_nop 0
	global_load_dword v27, v[32:33], off
	ds_read2st64_b32 v[28:29], v8 offset0:16 offset1:20
	s_waitcnt vmcnt(0) lgkmcnt(0)
	v_pk_fma_f32 v[26:27], v[4:5], v[28:29], v[26:27]
	global_store_dword v[30:31], v26, off
	global_store_dword v[32:33], v27, off
	global_load_dword v26, v[22:23], off
	s_nop 0
	global_load_dword v27, v[24:25], off
	ds_read2st64_b32 v[28:29], v8 offset0:24 offset1:28
	v_add_u32_e32 v8, 0x2000, v8
	s_waitcnt vmcnt(0) lgkmcnt(0)
	v_pk_fma_f32 v[26:27], v[4:5], v[28:29], v[26:27]
	global_store_dword v[22:23], v26, off
	global_store_dword v[24:25], v27, off
	s_andn2_b64 exec, exec, s[38:39]
	s_cbranch_execnz .LBB12_44
; %bb.45:                               ;   in Loop: Header=BB12_20 Depth=1
	s_or_b64 exec, exec, s[38:39]
.LBB12_46:                              ;   in Loop: Header=BB12_20 Depth=1
	s_or_b64 exec, exec, s[36:37]
	s_and_saveexec_b64 s[36:37], s[14:15]
	s_cbranch_execz .LBB12_49
; %bb.47:                               ;   in Loop: Header=BB12_20 Depth=1
	v_lshl_or_b32 v2, v9, 10, v14
	s_mov_b64 s[38:39], 0
	v_mov_b32_e32 v8, v12
.LBB12_48:                              ;   Parent Loop BB12_20 Depth=1
                                        ; =>  This Inner Loop Header: Depth=2
	v_add_u32_e32 v22, s27, v6
	v_ashrrev_i32_e32 v23, 31, v22
	v_add_u32_e32 v24, s27, v7
	v_lshlrev_b64 v[22:23], 2, v[22:23]
	v_mov_b32_e32 v9, s40
	v_ashrrev_i32_e32 v25, 31, v24
	v_add_co_u32_e32 v22, vcc, s33, v22
	v_lshlrev_b64 v[24:25], 2, v[24:25]
	v_addc_co_u32_e32 v23, vcc, v9, v23, vcc
	v_add_co_u32_e32 v24, vcc, s33, v24
	v_addc_co_u32_e32 v25, vcc, v9, v25, vcc
	global_load_dword v26, v[22:23], off
	global_load_dword v27, v[24:25], off
	ds_read2st64_b32 v[28:29], v2 offset1:4
	v_add_u32_e32 v8, -1, v8
	v_cmp_eq_u32_e32 vcc, 0, v8
	v_add_u32_e32 v7, 0x200, v7
	v_add_u32_e32 v6, 0x200, v6
	;; [unrolled: 1-line block ×3, first 2 shown]
	s_or_b64 s[38:39], vcc, s[38:39]
	s_waitcnt vmcnt(0) lgkmcnt(0)
	v_pk_fma_f32 v[26:27], v[4:5], v[28:29], v[26:27]
	global_store_dword v[22:23], v26, off
	global_store_dword v[24:25], v27, off
	s_andn2_b64 exec, exec, s[38:39]
	s_cbranch_execnz .LBB12_48
.LBB12_49:                              ;   in Loop: Header=BB12_20 Depth=1
	s_or_b64 exec, exec, s[36:37]
	s_mov_b64 s[36:37], 0
                                        ; implicit-def: $vgpr2
	s_and_saveexec_b64 s[38:39], s[16:17]
	s_xor_b64 s[38:39], exec, s[38:39]
; %bb.50:                               ;   in Loop: Header=BB12_20 Depth=1
	s_mov_b64 s[36:37], exec
	v_lshlrev_b32_e32 v2, 2, v11
; %bb.51:                               ;   in Loop: Header=BB12_20 Depth=1
	s_or_b64 exec, exec, s[38:39]
	s_orn2_b64 s[36:37], s[36:37], exec
	v_mov_b32_e32 v6, v11
.LBB12_52:                              ;   in Loop: Header=BB12_20 Depth=1
	s_or_b64 exec, exec, s[34:35]
	s_and_b64 exec, exec, s[36:37]
	s_cbranch_execz .LBB12_19
; %bb.53:                               ;   in Loop: Header=BB12_20 Depth=1
	v_ashrrev_i32_e32 v7, 31, v6
	s_add_u32 s27, s33, s30
	v_lshlrev_b64 v[8:9], 2, v[6:7]
	s_addc_u32 s30, s40, s31
	v_mov_b32_e32 v5, s30
	v_add_co_u32_e32 v8, vcc, s27, v8
	v_addc_co_u32_e32 v9, vcc, v5, v9, vcc
	s_mov_b64 s[30:31], 0
.LBB12_54:                              ;   Parent Loop BB12_20 Depth=1
                                        ; =>  This Inner Loop Header: Depth=2
	global_load_dword v5, v[8:9], off
	ds_read_b32 v7, v2
	v_add_u32_e32 v6, 0x100, v6
	v_cmp_le_i32_e32 vcc, s28, v6
	s_or_b64 s[30:31], vcc, s[30:31]
	v_add_u32_e32 v2, 0x400, v2
	s_waitcnt vmcnt(0) lgkmcnt(0)
	v_fmac_f32_e32 v5, v4, v7
	global_store_dword v[8:9], v5, off
	v_add_co_u32_e32 v8, vcc, 0x400, v8
	v_addc_co_u32_e32 v9, vcc, 0, v9, vcc
	s_andn2_b64 exec, exec, s[30:31]
	s_cbranch_execnz .LBB12_54
	s_branch .LBB12_19
.LBB12_55:
	s_endpgm
	.section	.rodata,"a",@progbits
	.p2align	6, 0x0
	.amdhsa_kernel _ZN9rocsolver6v33100L22larf_left_kernel_smallILi256EfiPKPfEEvT1_S5_T2_lS5_lPKT0_lS6_lS5_l
		.amdhsa_group_segment_fixed_size 9216
		.amdhsa_private_segment_fixed_size 0
		.amdhsa_kernarg_size 88
		.amdhsa_user_sgpr_count 6
		.amdhsa_user_sgpr_private_segment_buffer 1
		.amdhsa_user_sgpr_dispatch_ptr 0
		.amdhsa_user_sgpr_queue_ptr 0
		.amdhsa_user_sgpr_kernarg_segment_ptr 1
		.amdhsa_user_sgpr_dispatch_id 0
		.amdhsa_user_sgpr_flat_scratch_init 0
		.amdhsa_user_sgpr_kernarg_preload_length 0
		.amdhsa_user_sgpr_kernarg_preload_offset 0
		.amdhsa_user_sgpr_private_segment_size 0
		.amdhsa_uses_dynamic_stack 0
		.amdhsa_system_sgpr_private_segment_wavefront_offset 0
		.amdhsa_system_sgpr_workgroup_id_x 1
		.amdhsa_system_sgpr_workgroup_id_y 1
		.amdhsa_system_sgpr_workgroup_id_z 0
		.amdhsa_system_sgpr_workgroup_info 0
		.amdhsa_system_vgpr_workitem_id 0
		.amdhsa_next_free_vgpr 38
		.amdhsa_next_free_sgpr 45
		.amdhsa_accum_offset 40
		.amdhsa_reserve_vcc 1
		.amdhsa_reserve_flat_scratch 0
		.amdhsa_float_round_mode_32 0
		.amdhsa_float_round_mode_16_64 0
		.amdhsa_float_denorm_mode_32 3
		.amdhsa_float_denorm_mode_16_64 3
		.amdhsa_dx10_clamp 1
		.amdhsa_ieee_mode 1
		.amdhsa_fp16_overflow 0
		.amdhsa_tg_split 0
		.amdhsa_exception_fp_ieee_invalid_op 0
		.amdhsa_exception_fp_denorm_src 0
		.amdhsa_exception_fp_ieee_div_zero 0
		.amdhsa_exception_fp_ieee_overflow 0
		.amdhsa_exception_fp_ieee_underflow 0
		.amdhsa_exception_fp_ieee_inexact 0
		.amdhsa_exception_int_div_zero 0
	.end_amdhsa_kernel
	.section	.text._ZN9rocsolver6v33100L22larf_left_kernel_smallILi256EfiPKPfEEvT1_S5_T2_lS5_lPKT0_lS6_lS5_l,"axG",@progbits,_ZN9rocsolver6v33100L22larf_left_kernel_smallILi256EfiPKPfEEvT1_S5_T2_lS5_lPKT0_lS6_lS5_l,comdat
.Lfunc_end12:
	.size	_ZN9rocsolver6v33100L22larf_left_kernel_smallILi256EfiPKPfEEvT1_S5_T2_lS5_lPKT0_lS6_lS5_l, .Lfunc_end12-_ZN9rocsolver6v33100L22larf_left_kernel_smallILi256EfiPKPfEEvT1_S5_T2_lS5_lPKT0_lS6_lS5_l
                                        ; -- End function
	.section	.AMDGPU.csdata,"",@progbits
; Kernel info:
; codeLenInByte = 3372
; NumSgprs: 49
; NumVgprs: 38
; NumAgprs: 0
; TotalNumVgprs: 38
; ScratchSize: 0
; MemoryBound: 0
; FloatMode: 240
; IeeeMode: 1
; LDSByteSize: 9216 bytes/workgroup (compile time only)
; SGPRBlocks: 6
; VGPRBlocks: 4
; NumSGPRsForWavesPerEU: 49
; NumVGPRsForWavesPerEU: 38
; AccumOffset: 40
; Occupancy: 7
; WaveLimiterHint : 1
; COMPUTE_PGM_RSRC2:SCRATCH_EN: 0
; COMPUTE_PGM_RSRC2:USER_SGPR: 6
; COMPUTE_PGM_RSRC2:TRAP_HANDLER: 0
; COMPUTE_PGM_RSRC2:TGID_X_EN: 1
; COMPUTE_PGM_RSRC2:TGID_Y_EN: 1
; COMPUTE_PGM_RSRC2:TGID_Z_EN: 0
; COMPUTE_PGM_RSRC2:TIDIG_COMP_CNT: 0
; COMPUTE_PGM_RSRC3_GFX90A:ACCUM_OFFSET: 9
; COMPUTE_PGM_RSRC3_GFX90A:TG_SPLIT: 0
	.section	.text._ZN9rocsolver6v33100L22larf_left_kernel_smallILi512EfiPKPfEEvT1_S5_T2_lS5_lPKT0_lS6_lS5_l,"axG",@progbits,_ZN9rocsolver6v33100L22larf_left_kernel_smallILi512EfiPKPfEEvT1_S5_T2_lS5_lPKT0_lS6_lS5_l,comdat
	.globl	_ZN9rocsolver6v33100L22larf_left_kernel_smallILi512EfiPKPfEEvT1_S5_T2_lS5_lPKT0_lS6_lS5_l ; -- Begin function _ZN9rocsolver6v33100L22larf_left_kernel_smallILi512EfiPKPfEEvT1_S5_T2_lS5_lPKT0_lS6_lS5_l
	.p2align	8
	.type	_ZN9rocsolver6v33100L22larf_left_kernel_smallILi512EfiPKPfEEvT1_S5_T2_lS5_lPKT0_lS6_lS5_l,@function
_ZN9rocsolver6v33100L22larf_left_kernel_smallILi512EfiPKPfEEvT1_S5_T2_lS5_lPKT0_lS6_lS5_l: ; @_ZN9rocsolver6v33100L22larf_left_kernel_smallILi512EfiPKPfEEvT1_S5_T2_lS5_lPKT0_lS6_lS5_l
; %bb.0:
	s_load_dwordx8 s[20:27], s[4:5], 0x28
	s_load_dwordx2 s[28:29], s[4:5], 0x0
	s_mov_b32 s18, s7
	s_ashr_i32 s7, s6, 31
	s_lshl_b64 s[2:3], s[6:7], 3
	s_waitcnt lgkmcnt(0)
	s_add_u32 s0, s24, s2
	s_addc_u32 s1, s25, s3
	s_load_dwordx2 s[10:11], s[0:1], 0x0
	v_cmp_gt_i32_e64 s[0:1], s28, v0
	v_xad_u32 v4, v0, -1, s28
	s_and_saveexec_b64 s[12:13], s[0:1]
	s_cbranch_execz .LBB13_17
; %bb.1:
	s_load_dwordx4 s[36:39], s[4:5], 0x8
	s_load_dword s24, s[4:5], 0x18
	s_movk_i32 s8, 0x2dff
	v_cmp_lt_u32_e32 vcc, s8, v4
                                        ; implicit-def: $vgpr1
                                        ; implicit-def: $sgpr31
	s_waitcnt lgkmcnt(0)
	s_add_u32 s2, s36, s2
	s_addc_u32 s3, s37, s3
	s_load_dwordx2 s[2:3], s[2:3], 0x0
	s_lshl_b64 s[8:9], s[38:39], 2
	s_waitcnt lgkmcnt(0)
	s_add_u32 s19, s2, s8
	s_addc_u32 s25, s3, s9
	s_sub_i32 s2, 1, s28
	s_mul_i32 s2, s2, s24
	s_cmp_lt_i32 s24, 1
	s_cselect_b32 s30, s2, 0
	s_mov_b64 s[2:3], 0
	s_and_saveexec_b64 s[8:9], vcc
	s_xor_b64 s[14:15], exec, s[8:9]
	s_cbranch_execnz .LBB13_4
; %bb.2:
	s_or_saveexec_b64 s[8:9], s[14:15]
	v_mov_b32_e32 v5, s31
	s_xor_b64 exec, exec, s[8:9]
	s_cbranch_execnz .LBB13_14
.LBB13_3:
	s_or_b64 exec, exec, s[8:9]
	s_and_b64 exec, exec, s[2:3]
	s_cbranch_execnz .LBB13_15
	s_branch .LBB13_17
.LBB13_4:
	s_lshl_b32 s31, s24, 9
	s_sub_i32 s8, 0, s31
	s_cmp_lt_i32 s31, 0
	s_cselect_b64 vcc, -1, 0
	s_and_b64 s[2:3], vcc, exec
	v_lshrrev_b32_e32 v5, 9, v4
	s_cselect_b32 s8, s8, s31
	v_mul_lo_u32 v1, v0, s24
	v_mul_hi_u32 v2, s8, v5
	v_add_u32_e32 v1, s30, v1
	v_cmp_eq_u32_e64 s[2:3], 0, v2
	v_mul_lo_u32 v2, s8, v5
	v_add_u32_e32 v3, v1, v2
	v_sub_u32_e32 v2, v1, v2
	v_cmp_gt_i32_e64 s[8:9], v2, v1
	v_cndmask_b32_e64 v2, 0, 1, s[8:9]
	v_cmp_lt_i32_e64 s[8:9], v3, v1
	v_cndmask_b32_e64 v1, 0, 1, s[8:9]
	v_cndmask_b32_e32 v1, v1, v2, vcc
	v_and_b32_e32 v1, 1, v1
	v_cmp_eq_u32_e32 vcc, 1, v1
	s_xor_b64 s[16:17], vcc, -1
	s_mov_b64 s[8:9], -1
	s_and_b64 s[16:17], s[16:17], s[2:3]
	v_mov_b32_e32 v1, v0
	s_and_saveexec_b64 s[2:3], s[16:17]
	s_cbranch_execz .LBB13_13
; %bb.5:
	v_add_u32_e32 v2, -1, v5
	v_or_b32_e32 v1, 0x200, v0
	v_lshrrev_b32_e32 v3, 1, v2
	v_add_u32_e32 v6, 1, v3
	v_cmp_lt_u32_e32 vcc, 5, v2
	v_mov_b32_e32 v10, 0
	v_pk_mov_b32 v[2:3], v[0:1], v[0:1] op_sel:[0,1]
	s_and_saveexec_b64 s[8:9], vcc
	s_cbranch_execz .LBB13_9
; %bb.6:
	v_and_b32_e32 v7, -4, v6
	v_lshlrev_b32_e32 v8, 2, v0
	s_mov_b32 s33, 0
	s_mov_b64 s[16:17], 0
	v_mov_b32_e32 v9, s25
	v_pk_mov_b32 v[2:3], v[0:1], v[0:1] op_sel:[0,1]
.LBB13_7:                               ; =>This Inner Loop Header: Depth=1
	v_mul_lo_u32 v10, v2, s24
	v_add_u32_e32 v11, 0x400, v2
	v_add_u32_e32 v10, s30, v10
	v_mul_lo_u32 v1, v3, s24
	v_mul_lo_u32 v18, v11, s24
	v_ashrrev_i32_e32 v11, 31, v10
	v_add_u32_e32 v13, 0x400, v3
	v_add_u32_e32 v12, s30, v1
	v_lshlrev_b64 v[10:11], 2, v[10:11]
	v_add_u32_e32 v14, 0x800, v2
	v_add_u32_e32 v15, 0x800, v3
	v_mul_lo_u32 v1, v13, s24
	v_ashrrev_i32_e32 v13, 31, v12
	v_add_co_u32_e32 v10, vcc, s19, v10
	v_mul_lo_u32 v15, v15, s24
	v_mul_lo_u32 v19, v14, s24
	v_add_u32_e32 v14, s30, v18
	v_lshlrev_b64 v[12:13], 2, v[12:13]
	v_addc_co_u32_e32 v11, vcc, v9, v11, vcc
	v_add_u32_e32 v16, 0xc00, v2
	v_add_u32_e32 v17, 0xc00, v3
	;; [unrolled: 1-line block ×3, first 2 shown]
	v_ashrrev_i32_e32 v15, 31, v14
	v_add_co_u32_e32 v12, vcc, s19, v12
	v_mul_lo_u32 v17, v17, s24
	v_mul_lo_u32 v21, v16, s24
	v_add_u32_e32 v16, s30, v1
	v_addc_co_u32_e32 v13, vcc, v9, v13, vcc
	v_lshlrev_b64 v[14:15], 2, v[14:15]
	v_add_u32_e32 v24, s30, v17
	v_ashrrev_i32_e32 v17, 31, v16
	v_add_co_u32_e32 v14, vcc, s19, v14
	v_add_u32_e32 v18, s30, v19
	v_lshlrev_b64 v[16:17], 2, v[16:17]
	v_addc_co_u32_e32 v15, vcc, v9, v15, vcc
	v_ashrrev_i32_e32 v19, 31, v18
	v_add_co_u32_e32 v16, vcc, s19, v16
	v_lshlrev_b64 v[18:19], 2, v[18:19]
	v_addc_co_u32_e32 v17, vcc, v9, v17, vcc
	v_add_u32_e32 v22, s30, v21
	v_ashrrev_i32_e32 v21, 31, v20
	v_add_co_u32_e32 v18, vcc, s19, v18
	v_lshlrev_b64 v[20:21], 2, v[20:21]
	v_addc_co_u32_e32 v19, vcc, v9, v19, vcc
	v_ashrrev_i32_e32 v23, 31, v22
	v_add_co_u32_e32 v20, vcc, s19, v20
	v_lshlrev_b64 v[22:23], 2, v[22:23]
	v_addc_co_u32_e32 v21, vcc, v9, v21, vcc
	;; [unrolled: 4-line block ×3, first 2 shown]
	v_add_co_u32_e32 v24, vcc, s19, v24
	v_addc_co_u32_e32 v25, vcc, v9, v25, vcc
	global_load_dword v1, v[10:11], off
	global_load_dword v26, v[12:13], off
	;; [unrolled: 1-line block ×8, first 2 shown]
	v_add_u32_e32 v7, -4, v7
	s_add_i32 s33, s33, 8
	v_cmp_eq_u32_e32 vcc, 0, v7
	v_add_u32_e32 v3, 0x1000, v3
	v_add_u32_e32 v2, 0x1000, v2
	v_mov_b32_e32 v10, s33
	s_or_b64 s[16:17], vcc, s[16:17]
	s_waitcnt vmcnt(6)
	ds_write2st64_b32 v8, v1, v26 offset1:8
	s_waitcnt vmcnt(4)
	ds_write2st64_b32 v8, v27, v28 offset0:16 offset1:24
	s_waitcnt vmcnt(2)
	ds_write2st64_b32 v8, v29, v30 offset0:32 offset1:40
	;; [unrolled: 2-line block ×3, first 2 shown]
	v_add_u32_e32 v8, 0x4000, v8
	s_andn2_b64 exec, exec, s[16:17]
	s_cbranch_execnz .LBB13_7
; %bb.8:
	s_or_b64 exec, exec, s[16:17]
.LBB13_9:
	s_or_b64 exec, exec, s[8:9]
	v_and_b32_e32 v1, 3, v6
	v_cmp_ne_u32_e32 vcc, 0, v1
	s_and_saveexec_b64 s[8:9], vcc
	s_cbranch_execz .LBB13_12
; %bb.10:
	v_lshlrev_b32_e32 v6, 2, v0
	v_lshl_or_b32 v6, v10, 11, v6
	s_mov_b64 s[16:17], 0
	v_mov_b32_e32 v7, s25
.LBB13_11:                              ; =>This Inner Loop Header: Depth=1
	v_mul_lo_u32 v8, v2, s24
	v_mul_lo_u32 v9, v3, s24
	v_add_u32_e32 v8, s30, v8
	v_add_u32_e32 v10, s30, v9
	v_ashrrev_i32_e32 v9, 31, v8
	v_lshlrev_b64 v[8:9], 2, v[8:9]
	v_ashrrev_i32_e32 v11, 31, v10
	v_add_co_u32_e32 v8, vcc, s19, v8
	v_lshlrev_b64 v[10:11], 2, v[10:11]
	v_addc_co_u32_e32 v9, vcc, v7, v9, vcc
	v_add_co_u32_e32 v10, vcc, s19, v10
	v_addc_co_u32_e32 v11, vcc, v7, v11, vcc
	global_load_dword v12, v[8:9], off
	global_load_dword v13, v[10:11], off
	v_add_u32_e32 v1, -1, v1
	v_cmp_eq_u32_e32 vcc, 0, v1
	v_add_u32_e32 v3, 0x400, v3
	v_add_u32_e32 v2, 0x400, v2
	s_or_b64 s[16:17], vcc, s[16:17]
	s_waitcnt vmcnt(0)
	ds_write2st64_b32 v6, v12, v13 offset1:8
	v_add_u32_e32 v6, 0x1000, v6
	s_andn2_b64 exec, exec, s[16:17]
	s_cbranch_execnz .LBB13_11
.LBB13_12:
	s_or_b64 exec, exec, s[8:9]
	v_add_u32_e32 v2, 1, v5
	v_and_b32_e32 v3, 0xfffffe, v2
	v_cmp_ne_u32_e32 vcc, v2, v3
	v_lshl_or_b32 v1, v3, 9, v0
	s_orn2_b64 s[8:9], vcc, exec
.LBB13_13:
	s_or_b64 exec, exec, s[2:3]
	s_and_b64 s[2:3], s[8:9], exec
	s_or_saveexec_b64 s[8:9], s[14:15]
	v_mov_b32_e32 v5, s31
	s_xor_b64 exec, exec, s[8:9]
	s_cbranch_execz .LBB13_3
.LBB13_14:
	s_lshl_b32 s14, s24, 9
	v_mov_b32_e32 v5, s14
	s_or_b64 s[2:3], s[2:3], exec
	v_mov_b32_e32 v1, v0
	s_or_b64 exec, exec, s[8:9]
	s_and_b64 exec, exec, s[2:3]
	s_cbranch_execz .LBB13_17
.LBB13_15:
	v_mul_lo_u32 v2, v1, s24
	v_add_u32_e32 v2, s30, v2
	v_lshlrev_b32_e32 v6, 2, v1
	s_mov_b64 s[2:3], 0
	v_mov_b32_e32 v7, s25
.LBB13_16:                              ; =>This Inner Loop Header: Depth=1
	v_ashrrev_i32_e32 v3, 31, v2
	v_lshlrev_b64 v[8:9], 2, v[2:3]
	v_add_co_u32_e32 v8, vcc, s19, v8
	v_addc_co_u32_e32 v9, vcc, v7, v9, vcc
	global_load_dword v3, v[8:9], off
	v_add_u32_e32 v1, 0x200, v1
	v_cmp_le_i32_e32 vcc, s28, v1
	v_add_u32_e32 v2, v2, v5
	s_or_b64 s[2:3], vcc, s[2:3]
	s_waitcnt vmcnt(0)
	ds_write_b32 v6, v3
	v_add_u32_e32 v6, 0x800, v6
	s_andn2_b64 exec, exec, s[2:3]
	s_cbranch_execnz .LBB13_16
.LBB13_17:
	s_or_b64 exec, exec, s[12:13]
	s_cmp_ge_i32 s18, s29
	s_waitcnt lgkmcnt(0)
	s_barrier
	s_cbranch_scc1 .LBB13_55
; %bb.18:
	s_lshl_b64 s[2:3], s[26:27], 2
	s_add_u32 s33, s10, s2
	s_addc_u32 s40, s11, s3
	s_mul_i32 s2, s6, s23
	s_mul_hi_u32 s3, s6, s22
	s_add_i32 s2, s3, s2
	s_mul_i32 s3, s7, s22
	s_add_i32 s3, s2, s3
	s_mul_i32 s2, s6, s22
	s_load_dword s19, s[4:5], 0x48
	s_lshl_b64 s[2:3], s[2:3], 2
	s_add_u32 s20, s20, s2
	v_and_b32_e32 v1, 63, v0
	s_addc_u32 s21, s21, s3
	v_cmp_eq_u32_e64 s[2:3], 0, v1
	v_lshrrev_b32_e32 v1, 9, v4
	v_add_u32_e32 v2, 1, v1
	v_add_u32_e32 v3, -1, v1
	s_movk_i32 s8, 0xdff
	s_movk_i32 s10, 0x1ff
	s_cmp_gt_i32 s28, 1
	v_lshrrev_b32_e32 v1, 1, v3
	v_cmp_lt_u32_e64 s[8:9], s8, v4
	v_cmp_lt_u32_e64 s[10:11], s10, v4
	v_and_b32_e32 v4, 0xfffffe, v2
	v_lshlrev_b32_e32 v14, 2, v0
	s_cselect_b64 s[22:23], -1, 0
	v_add_u32_e32 v5, 1, v1
	v_and_b32_e32 v6, 7, v2
	v_cmp_ne_u32_e64 s[16:17], v2, v4
	v_mov_b32_e32 v2, s40
	v_add_co_u32_e32 v15, vcc, s33, v14
	s_waitcnt lgkmcnt(0)
	s_lshl_b32 s41, s19, 6
	v_and_b32_e32 v12, 3, v5
	v_addc_co_u32_e32 v16, vcc, 0, v2, vcc
	s_add_u32 s42, s33, 0x3800
	v_mbcnt_lo_u32_b32 v2, -1, 0
	v_lshrrev_b32_e32 v10, 4, v0
	v_cmp_eq_u32_e64 s[4:5], 0, v0
	v_cmp_ne_u32_e64 s[6:7], 0, v6
	v_lshl_or_b32 v11, v4, 9, v0
	v_or_b32_e32 v1, 0x200, v0
	v_cmp_lt_u32_e64 s[12:13], 5, v3
	v_and_b32_e32 v13, -4, v5
	v_cmp_ne_u32_e64 s[14:15], 0, v12
	v_mov_b32_e32 v3, 0
	s_mul_i32 s24, s18, s19
	v_lshlrev_b32_e32 v17, 2, v6
	s_addc_u32 s43, s40, 0
	v_mov_b32_e32 v18, 0x2004
	v_mov_b32_e32 v19, 0x200c
	;; [unrolled: 1-line block ×3, first 2 shown]
	v_mbcnt_hi_u32_b32 v21, -1, v2
	s_branch .LBB13_20
.LBB13_19:                              ;   in Loop: Header=BB13_20 Depth=1
	s_or_b64 exec, exec, s[30:31]
	s_add_i32 s18, s18, 64
	s_add_i32 s24, s24, s41
	s_cmp_ge_i32 s18, s29
	s_cbranch_scc1 .LBB13_55
.LBB13_20:                              ; =>This Loop Header: Depth=1
                                        ;     Child Loop BB13_23 Depth 2
                                        ;     Child Loop BB13_27 Depth 2
                                        ;     Child Loop BB13_44 Depth 2
                                        ;     Child Loop BB13_48 Depth 2
                                        ;     Child Loop BB13_54 Depth 2
	s_ashr_i32 s25, s24, 31
	s_lshl_b64 s[26:27], s[24:25], 2
	v_mov_b32_e32 v6, 0
	s_and_saveexec_b64 s[30:31], s[0:1]
	s_cbranch_execz .LBB13_30
; %bb.21:                               ;   in Loop: Header=BB13_20 Depth=1
	v_mov_b32_e32 v6, 0
	v_mov_b32_e32 v2, v0
	s_and_saveexec_b64 s[34:35], s[6:7]
	s_cbranch_execz .LBB13_25
; %bb.22:                               ;   in Loop: Header=BB13_20 Depth=1
	v_mov_b32_e32 v2, s27
	v_add_co_u32_e32 v4, vcc, s26, v15
	v_addc_co_u32_e32 v5, vcc, v16, v2, vcc
	s_mov_b64 s[36:37], 0
	v_mov_b32_e32 v6, 0
	v_mov_b32_e32 v7, v17
	;; [unrolled: 1-line block ×4, first 2 shown]
.LBB13_23:                              ;   Parent Loop BB13_20 Depth=1
                                        ; =>  This Inner Loop Header: Depth=2
	global_load_dword v9, v[4:5], off
	ds_read_b32 v22, v8
	v_add_co_u32_e32 v4, vcc, 0x800, v4
	v_add_u32_e32 v7, -4, v7
	v_addc_co_u32_e32 v5, vcc, 0, v5, vcc
	v_cmp_eq_u32_e32 vcc, 0, v7
	v_add_u32_e32 v2, 0x200, v2
	v_add_u32_e32 v8, 0x800, v8
	s_or_b64 s[36:37], vcc, s[36:37]
	s_waitcnt vmcnt(0) lgkmcnt(0)
	v_mul_f32_e32 v9, v22, v9
	v_add_f32_e32 v6, v6, v9
	s_andn2_b64 exec, exec, s[36:37]
	s_cbranch_execnz .LBB13_23
; %bb.24:                               ;   in Loop: Header=BB13_20 Depth=1
	s_or_b64 exec, exec, s[36:37]
.LBB13_25:                              ;   in Loop: Header=BB13_20 Depth=1
	s_or_b64 exec, exec, s[34:35]
	s_and_saveexec_b64 s[34:35], s[8:9]
	s_cbranch_execz .LBB13_29
; %bb.26:                               ;   in Loop: Header=BB13_20 Depth=1
	s_add_u32 s25, s42, s26
	v_lshlrev_b64 v[4:5], 2, v[2:3]
	s_addc_u32 s36, s43, s27
	v_mov_b32_e32 v7, s36
	v_add_co_u32_e32 v4, vcc, s25, v4
	v_addc_co_u32_e32 v5, vcc, v7, v5, vcc
	v_lshlrev_b32_e32 v7, 2, v2
	s_mov_b64 s[36:37], 0
.LBB13_27:                              ;   Parent Loop BB13_20 Depth=1
                                        ; =>  This Inner Loop Header: Depth=2
	v_add_co_u32_e32 v8, vcc, 0xffffd000, v4
	v_addc_co_u32_e32 v9, vcc, -1, v5, vcc
	v_add_co_u32_e32 v22, vcc, 0xffffe000, v4
	v_addc_co_u32_e32 v23, vcc, -1, v5, vcc
	global_load_dword v28, v[8:9], off offset:-2048
	global_load_dword v29, v[8:9], off
	global_load_dword v30, v[22:23], off offset:-2048
	global_load_dword v31, v[22:23], off
	v_add_co_u32_e32 v24, vcc, 0xfffff000, v4
	v_addc_co_u32_e32 v25, vcc, -1, v5, vcc
	global_load_dword v32, v[24:25], off offset:-2048
	global_load_dword v33, v[4:5], off offset:-4096
	;; [unrolled: 1-line block ×3, first 2 shown]
	global_load_dword v35, v[4:5], off
	ds_read2st64_b32 v[8:9], v7 offset1:8
	ds_read2st64_b32 v[22:23], v7 offset0:16 offset1:24
	ds_read2st64_b32 v[24:25], v7 offset0:32 offset1:40
	;; [unrolled: 1-line block ×3, first 2 shown]
	v_add_u32_e32 v2, 0x1000, v2
	v_cmp_le_i32_e32 vcc, s28, v2
	s_or_b64 s[36:37], vcc, s[36:37]
	v_add_co_u32_e32 v4, vcc, 0x4000, v4
	v_add_u32_e32 v7, 0x4000, v7
	v_addc_co_u32_e32 v5, vcc, 0, v5, vcc
	s_waitcnt vmcnt(7) lgkmcnt(3)
	v_mul_f32_e32 v8, v8, v28
	s_waitcnt vmcnt(6)
	v_mul_f32_e32 v9, v9, v29
	v_add_f32_e32 v6, v6, v8
	s_waitcnt vmcnt(5) lgkmcnt(2)
	v_mul_f32_e32 v8, v22, v30
	v_add_f32_e32 v6, v6, v9
	s_waitcnt vmcnt(4)
	v_mul_f32_e32 v22, v23, v31
	v_add_f32_e32 v6, v6, v8
	s_waitcnt vmcnt(3) lgkmcnt(1)
	v_mul_f32_e32 v9, v24, v32
	v_add_f32_e32 v6, v6, v22
	;; [unrolled: 6-line block ×3, first 2 shown]
	s_waitcnt vmcnt(0)
	v_mul_f32_e32 v25, v27, v35
	v_add_f32_e32 v6, v6, v24
	v_add_f32_e32 v6, v6, v25
	s_andn2_b64 exec, exec, s[36:37]
	s_cbranch_execnz .LBB13_27
; %bb.28:                               ;   in Loop: Header=BB13_20 Depth=1
	s_or_b64 exec, exec, s[36:37]
.LBB13_29:                              ;   in Loop: Header=BB13_20 Depth=1
	s_or_b64 exec, exec, s[34:35]
.LBB13_30:                              ;   in Loop: Header=BB13_20 Depth=1
	s_or_b64 exec, exec, s[30:31]
	s_and_b64 vcc, exec, s[22:23]
	s_cbranch_vccz .LBB13_37
; %bb.31:                               ;   in Loop: Header=BB13_20 Depth=1
	v_and_b32_e32 v2, 63, v21
	v_cmp_ne_u32_e32 vcc, 63, v2
	v_addc_co_u32_e32 v4, vcc, 0, v21, vcc
	v_lshlrev_b32_e32 v4, 2, v4
	ds_bpermute_b32 v4, v4, v6
	v_cmp_gt_u32_e32 vcc, 62, v2
	v_cndmask_b32_e64 v5, 0, 1, vcc
	v_lshlrev_b32_e32 v5, 1, v5
	v_add_lshl_u32 v5, v5, v21, 2
	s_waitcnt lgkmcnt(0)
	v_add_f32_e32 v4, v6, v4
	ds_bpermute_b32 v5, v5, v4
	v_cmp_gt_u32_e32 vcc, 60, v2
	v_cndmask_b32_e64 v7, 0, 1, vcc
	v_cmp_gt_u32_e32 vcc, 56, v2
	s_waitcnt lgkmcnt(0)
	v_add_f32_e32 v4, v4, v5
	v_lshlrev_b32_e32 v5, 2, v7
	v_add_lshl_u32 v5, v5, v21, 2
	ds_bpermute_b32 v5, v5, v4
	v_cndmask_b32_e64 v7, 0, 1, vcc
	v_cmp_gt_u32_e32 vcc, 48, v2
	s_waitcnt lgkmcnt(0)
	v_add_f32_e32 v4, v4, v5
	v_lshlrev_b32_e32 v5, 3, v7
	v_add_lshl_u32 v5, v5, v21, 2
	ds_bpermute_b32 v5, v5, v4
	v_cndmask_b32_e64 v7, 0, 1, vcc
	v_cmp_gt_u32_e32 vcc, 32, v2
	v_cndmask_b32_e64 v2, 0, 1, vcc
	v_lshlrev_b32_e32 v2, 5, v2
	s_waitcnt lgkmcnt(0)
	v_add_f32_e32 v4, v4, v5
	v_lshlrev_b32_e32 v5, 4, v7
	v_add_lshl_u32 v5, v5, v21, 2
	ds_bpermute_b32 v5, v5, v4
	v_add_lshl_u32 v2, v2, v21, 2
	s_waitcnt lgkmcnt(0)
	v_add_f32_e32 v4, v4, v5
	ds_bpermute_b32 v2, v2, v4
	s_waitcnt lgkmcnt(0)
	v_add_f32_e32 v2, v4, v2
	s_and_saveexec_b64 s[30:31], s[2:3]
	s_cbranch_execz .LBB13_33
; %bb.32:                               ;   in Loop: Header=BB13_20 Depth=1
	ds_write_b32 v10, v2 offset:8192
.LBB13_33:                              ;   in Loop: Header=BB13_20 Depth=1
	s_or_b64 exec, exec, s[30:31]
	s_mov_b64 s[34:35], 0
	s_mov_b64 s[30:31], 0
	s_waitcnt lgkmcnt(0)
	s_barrier
	s_waitcnt lgkmcnt(0)
                                        ; implicit-def: $vgpr4
	s_and_saveexec_b64 s[36:37], s[4:5]
	s_xor_b64 s[36:37], exec, s[36:37]
	s_cbranch_execz .LBB13_35
; %bb.34:                               ;   in Loop: Header=BB13_20 Depth=1
	ds_read2_b32 v[4:5], v18 offset1:1
	ds_read2_b32 v[8:9], v19 offset1:1
	;; [unrolled: 1-line block ×3, first 2 shown]
	ds_read_b32 v7, v3 offset:8220
	s_mov_b64 s[30:31], exec
	s_waitcnt lgkmcnt(3)
	v_add_f32_e32 v2, v2, v4
	v_add_f32_e32 v2, v2, v5
	s_waitcnt lgkmcnt(2)
	v_add_f32_e32 v2, v2, v8
	v_add_f32_e32 v2, v2, v9
	;; [unrolled: 3-line block ×3, first 2 shown]
	s_waitcnt lgkmcnt(0)
	v_add_f32_e32 v4, v2, v7
.LBB13_35:                              ;   in Loop: Header=BB13_20 Depth=1
	s_or_b64 exec, exec, s[36:37]
	s_and_b64 vcc, exec, s[34:35]
	s_cbranch_vccnz .LBB13_38
.LBB13_36:                              ;   in Loop: Header=BB13_20 Depth=1
	v_mov_b32_e32 v6, v4
	s_and_saveexec_b64 s[34:35], s[30:31]
	s_cbranch_execnz .LBB13_39
	s_branch .LBB13_40
.LBB13_37:                              ;   in Loop: Header=BB13_20 Depth=1
	s_mov_b64 s[30:31], 0
                                        ; implicit-def: $vgpr4
	s_cbranch_execz .LBB13_36
.LBB13_38:                              ;   in Loop: Header=BB13_20 Depth=1
	s_andn2_b64 s[30:31], s[30:31], exec
	s_and_b64 s[34:35], s[4:5], exec
	s_or_b64 s[30:31], s[30:31], s[34:35]
	s_and_saveexec_b64 s[34:35], s[30:31]
	s_cbranch_execz .LBB13_40
.LBB13_39:                              ;   in Loop: Header=BB13_20 Depth=1
	ds_write_b32 v3, v6 offset:8192
.LBB13_40:                              ;   in Loop: Header=BB13_20 Depth=1
	s_or_b64 exec, exec, s[34:35]
	s_waitcnt lgkmcnt(0)
	s_barrier
	s_and_saveexec_b64 s[30:31], s[0:1]
	s_cbranch_execz .LBB13_19
; %bb.41:                               ;   in Loop: Header=BB13_20 Depth=1
	global_load_dword v2, v3, s[20:21]
	ds_read_b32 v4, v3 offset:8192
	s_mov_b64 s[36:37], -1
	v_mov_b32_e32 v6, v0
	s_waitcnt vmcnt(0) lgkmcnt(0)
	v_mul_f32_e64 v4, v4, -v2
	v_mov_b32_e32 v2, v14
	s_and_saveexec_b64 s[34:35], s[10:11]
	s_cbranch_execz .LBB13_52
; %bb.42:                               ;   in Loop: Header=BB13_20 Depth=1
	s_mul_i32 s25, s18, s19
	v_mov_b32_e32 v5, v4
	v_mov_b32_e32 v9, 0
	v_pk_mov_b32 v[6:7], v[0:1], v[0:1] op_sel:[0,1]
	s_and_saveexec_b64 s[36:37], s[12:13]
	s_cbranch_execz .LBB13_46
; %bb.43:                               ;   in Loop: Header=BB13_20 Depth=1
	s_mov_b32 s44, 0
	s_mov_b64 s[38:39], 0
	v_mov_b32_e32 v2, v13
	v_mov_b32_e32 v8, v14
	v_pk_mov_b32 v[6:7], v[0:1], v[0:1] op_sel:[0,1]
.LBB13_44:                              ;   Parent Loop BB13_20 Depth=1
                                        ; =>  This Inner Loop Header: Depth=2
	v_add_u32_e32 v22, s25, v6
	v_ashrrev_i32_e32 v23, 31, v22
	v_add_u32_e32 v24, s25, v7
	v_lshlrev_b64 v[26:27], 2, v[22:23]
	v_mov_b32_e32 v9, s40
	v_ashrrev_i32_e32 v25, 31, v24
	v_add_co_u32_e32 v26, vcc, s33, v26
	v_lshlrev_b64 v[28:29], 2, v[24:25]
	v_addc_co_u32_e32 v27, vcc, v9, v27, vcc
	v_add_co_u32_e32 v28, vcc, s33, v28
	v_addc_co_u32_e32 v29, vcc, v9, v29, vcc
	global_load_dword v30, v[26:27], off
	global_load_dword v31, v[28:29], off
	ds_read2st64_b32 v[32:33], v8 offset1:8
	v_add_u32_e32 v34, 0x400, v22
	v_ashrrev_i32_e32 v35, 31, v34
	v_add_u32_e32 v36, 0x400, v24
	v_lshlrev_b64 v[34:35], 2, v[34:35]
	v_ashrrev_i32_e32 v37, 31, v36
	v_add_co_u32_e32 v34, vcc, s33, v34
	v_lshlrev_b64 v[36:37], 2, v[36:37]
	v_addc_co_u32_e32 v35, vcc, v9, v35, vcc
	v_add_co_u32_e32 v36, vcc, s33, v36
	v_addc_co_u32_e32 v37, vcc, v9, v37, vcc
	v_add_u32_e32 v2, -4, v2
	s_add_i32 s44, s44, 8
	v_add_u32_e32 v7, 0x1000, v7
	v_add_u32_e32 v6, 0x1000, v6
	s_waitcnt vmcnt(0) lgkmcnt(0)
	v_pk_fma_f32 v[30:31], v[4:5], v[32:33], v[30:31]
	global_store_dword v[26:27], v30, off
	global_store_dword v[28:29], v31, off
	global_load_dword v26, v[34:35], off
	s_nop 0
	global_load_dword v27, v[36:37], off
	ds_read2st64_b32 v[28:29], v8 offset0:16 offset1:24
	v_add_u32_e32 v30, 0x800, v22
	v_ashrrev_i32_e32 v31, 31, v30
	v_add_u32_e32 v32, 0x800, v24
	v_lshlrev_b64 v[30:31], 2, v[30:31]
	v_ashrrev_i32_e32 v33, 31, v32
	v_add_co_u32_e32 v30, vcc, s33, v30
	v_lshlrev_b64 v[32:33], 2, v[32:33]
	v_addc_co_u32_e32 v31, vcc, v9, v31, vcc
	v_add_co_u32_e32 v32, vcc, s33, v32
	v_addc_co_u32_e32 v33, vcc, v9, v33, vcc
	v_add_u32_e32 v22, 0xc00, v22
	v_ashrrev_i32_e32 v23, 31, v22
	v_add_u32_e32 v24, 0xc00, v24
	v_lshlrev_b64 v[22:23], 2, v[22:23]
	v_ashrrev_i32_e32 v25, 31, v24
	v_add_co_u32_e32 v22, vcc, s33, v22
	v_lshlrev_b64 v[24:25], 2, v[24:25]
	v_addc_co_u32_e32 v23, vcc, v9, v23, vcc
	v_add_co_u32_e32 v24, vcc, s33, v24
	v_addc_co_u32_e32 v25, vcc, v9, v25, vcc
	v_cmp_eq_u32_e32 vcc, 0, v2
	v_mov_b32_e32 v9, s44
	s_or_b64 s[38:39], vcc, s[38:39]
	s_waitcnt vmcnt(0) lgkmcnt(0)
	v_pk_fma_f32 v[26:27], v[4:5], v[28:29], v[26:27]
	global_store_dword v[34:35], v26, off
	global_store_dword v[36:37], v27, off
	global_load_dword v26, v[30:31], off
	s_nop 0
	global_load_dword v27, v[32:33], off
	ds_read2st64_b32 v[28:29], v8 offset0:32 offset1:40
	s_waitcnt vmcnt(0) lgkmcnt(0)
	v_pk_fma_f32 v[26:27], v[4:5], v[28:29], v[26:27]
	global_store_dword v[30:31], v26, off
	global_store_dword v[32:33], v27, off
	global_load_dword v26, v[22:23], off
	s_nop 0
	global_load_dword v27, v[24:25], off
	ds_read2st64_b32 v[28:29], v8 offset0:48 offset1:56
	v_add_u32_e32 v8, 0x4000, v8
	s_waitcnt vmcnt(0) lgkmcnt(0)
	v_pk_fma_f32 v[26:27], v[4:5], v[28:29], v[26:27]
	global_store_dword v[22:23], v26, off
	global_store_dword v[24:25], v27, off
	s_andn2_b64 exec, exec, s[38:39]
	s_cbranch_execnz .LBB13_44
; %bb.45:                               ;   in Loop: Header=BB13_20 Depth=1
	s_or_b64 exec, exec, s[38:39]
.LBB13_46:                              ;   in Loop: Header=BB13_20 Depth=1
	s_or_b64 exec, exec, s[36:37]
	s_and_saveexec_b64 s[36:37], s[14:15]
	s_cbranch_execz .LBB13_49
; %bb.47:                               ;   in Loop: Header=BB13_20 Depth=1
	v_lshl_or_b32 v2, v9, 11, v14
	s_mov_b64 s[38:39], 0
	v_mov_b32_e32 v8, v12
.LBB13_48:                              ;   Parent Loop BB13_20 Depth=1
                                        ; =>  This Inner Loop Header: Depth=2
	v_add_u32_e32 v22, s25, v6
	v_ashrrev_i32_e32 v23, 31, v22
	v_add_u32_e32 v24, s25, v7
	v_lshlrev_b64 v[22:23], 2, v[22:23]
	v_mov_b32_e32 v9, s40
	v_ashrrev_i32_e32 v25, 31, v24
	v_add_co_u32_e32 v22, vcc, s33, v22
	v_lshlrev_b64 v[24:25], 2, v[24:25]
	v_addc_co_u32_e32 v23, vcc, v9, v23, vcc
	v_add_co_u32_e32 v24, vcc, s33, v24
	v_addc_co_u32_e32 v25, vcc, v9, v25, vcc
	global_load_dword v26, v[22:23], off
	global_load_dword v27, v[24:25], off
	ds_read2st64_b32 v[28:29], v2 offset1:8
	v_add_u32_e32 v8, -1, v8
	v_cmp_eq_u32_e32 vcc, 0, v8
	v_add_u32_e32 v7, 0x400, v7
	v_add_u32_e32 v6, 0x400, v6
	;; [unrolled: 1-line block ×3, first 2 shown]
	s_or_b64 s[38:39], vcc, s[38:39]
	s_waitcnt vmcnt(0) lgkmcnt(0)
	v_pk_fma_f32 v[26:27], v[4:5], v[28:29], v[26:27]
	global_store_dword v[22:23], v26, off
	global_store_dword v[24:25], v27, off
	s_andn2_b64 exec, exec, s[38:39]
	s_cbranch_execnz .LBB13_48
.LBB13_49:                              ;   in Loop: Header=BB13_20 Depth=1
	s_or_b64 exec, exec, s[36:37]
	s_mov_b64 s[36:37], 0
                                        ; implicit-def: $vgpr2
	s_and_saveexec_b64 s[38:39], s[16:17]
	s_xor_b64 s[38:39], exec, s[38:39]
; %bb.50:                               ;   in Loop: Header=BB13_20 Depth=1
	s_mov_b64 s[36:37], exec
	v_lshlrev_b32_e32 v2, 2, v11
; %bb.51:                               ;   in Loop: Header=BB13_20 Depth=1
	s_or_b64 exec, exec, s[38:39]
	s_orn2_b64 s[36:37], s[36:37], exec
	v_mov_b32_e32 v6, v11
.LBB13_52:                              ;   in Loop: Header=BB13_20 Depth=1
	s_or_b64 exec, exec, s[34:35]
	s_and_b64 exec, exec, s[36:37]
	s_cbranch_execz .LBB13_19
; %bb.53:                               ;   in Loop: Header=BB13_20 Depth=1
	v_ashrrev_i32_e32 v7, 31, v6
	s_add_u32 s25, s33, s26
	v_lshlrev_b64 v[8:9], 2, v[6:7]
	s_addc_u32 s26, s40, s27
	v_mov_b32_e32 v5, s26
	v_add_co_u32_e32 v8, vcc, s25, v8
	v_addc_co_u32_e32 v9, vcc, v5, v9, vcc
	s_mov_b64 s[26:27], 0
.LBB13_54:                              ;   Parent Loop BB13_20 Depth=1
                                        ; =>  This Inner Loop Header: Depth=2
	global_load_dword v5, v[8:9], off
	ds_read_b32 v7, v2
	v_add_u32_e32 v6, 0x200, v6
	v_cmp_le_i32_e32 vcc, s28, v6
	s_or_b64 s[26:27], vcc, s[26:27]
	v_add_u32_e32 v2, 0x800, v2
	s_waitcnt vmcnt(0) lgkmcnt(0)
	v_fmac_f32_e32 v5, v4, v7
	global_store_dword v[8:9], v5, off
	v_add_co_u32_e32 v8, vcc, 0x800, v8
	v_addc_co_u32_e32 v9, vcc, 0, v9, vcc
	s_andn2_b64 exec, exec, s[26:27]
	s_cbranch_execnz .LBB13_54
	s_branch .LBB13_19
.LBB13_55:
	s_endpgm
	.section	.rodata,"a",@progbits
	.p2align	6, 0x0
	.amdhsa_kernel _ZN9rocsolver6v33100L22larf_left_kernel_smallILi512EfiPKPfEEvT1_S5_T2_lS5_lPKT0_lS6_lS5_l
		.amdhsa_group_segment_fixed_size 10240
		.amdhsa_private_segment_fixed_size 0
		.amdhsa_kernarg_size 88
		.amdhsa_user_sgpr_count 6
		.amdhsa_user_sgpr_private_segment_buffer 1
		.amdhsa_user_sgpr_dispatch_ptr 0
		.amdhsa_user_sgpr_queue_ptr 0
		.amdhsa_user_sgpr_kernarg_segment_ptr 1
		.amdhsa_user_sgpr_dispatch_id 0
		.amdhsa_user_sgpr_flat_scratch_init 0
		.amdhsa_user_sgpr_kernarg_preload_length 0
		.amdhsa_user_sgpr_kernarg_preload_offset 0
		.amdhsa_user_sgpr_private_segment_size 0
		.amdhsa_uses_dynamic_stack 0
		.amdhsa_system_sgpr_private_segment_wavefront_offset 0
		.amdhsa_system_sgpr_workgroup_id_x 1
		.amdhsa_system_sgpr_workgroup_id_y 1
		.amdhsa_system_sgpr_workgroup_id_z 0
		.amdhsa_system_sgpr_workgroup_info 0
		.amdhsa_system_vgpr_workitem_id 0
		.amdhsa_next_free_vgpr 38
		.amdhsa_next_free_sgpr 45
		.amdhsa_accum_offset 40
		.amdhsa_reserve_vcc 1
		.amdhsa_reserve_flat_scratch 0
		.amdhsa_float_round_mode_32 0
		.amdhsa_float_round_mode_16_64 0
		.amdhsa_float_denorm_mode_32 3
		.amdhsa_float_denorm_mode_16_64 3
		.amdhsa_dx10_clamp 1
		.amdhsa_ieee_mode 1
		.amdhsa_fp16_overflow 0
		.amdhsa_tg_split 0
		.amdhsa_exception_fp_ieee_invalid_op 0
		.amdhsa_exception_fp_denorm_src 0
		.amdhsa_exception_fp_ieee_div_zero 0
		.amdhsa_exception_fp_ieee_overflow 0
		.amdhsa_exception_fp_ieee_underflow 0
		.amdhsa_exception_fp_ieee_inexact 0
		.amdhsa_exception_int_div_zero 0
	.end_amdhsa_kernel
	.section	.text._ZN9rocsolver6v33100L22larf_left_kernel_smallILi512EfiPKPfEEvT1_S5_T2_lS5_lPKT0_lS6_lS5_l,"axG",@progbits,_ZN9rocsolver6v33100L22larf_left_kernel_smallILi512EfiPKPfEEvT1_S5_T2_lS5_lPKT0_lS6_lS5_l,comdat
.Lfunc_end13:
	.size	_ZN9rocsolver6v33100L22larf_left_kernel_smallILi512EfiPKPfEEvT1_S5_T2_lS5_lPKT0_lS6_lS5_l, .Lfunc_end13-_ZN9rocsolver6v33100L22larf_left_kernel_smallILi512EfiPKPfEEvT1_S5_T2_lS5_lPKT0_lS6_lS5_l
                                        ; -- End function
	.section	.AMDGPU.csdata,"",@progbits
; Kernel info:
; codeLenInByte = 3448
; NumSgprs: 49
; NumVgprs: 38
; NumAgprs: 0
; TotalNumVgprs: 38
; ScratchSize: 0
; MemoryBound: 0
; FloatMode: 240
; IeeeMode: 1
; LDSByteSize: 10240 bytes/workgroup (compile time only)
; SGPRBlocks: 6
; VGPRBlocks: 4
; NumSGPRsForWavesPerEU: 49
; NumVGPRsForWavesPerEU: 38
; AccumOffset: 40
; Occupancy: 8
; WaveLimiterHint : 1
; COMPUTE_PGM_RSRC2:SCRATCH_EN: 0
; COMPUTE_PGM_RSRC2:USER_SGPR: 6
; COMPUTE_PGM_RSRC2:TRAP_HANDLER: 0
; COMPUTE_PGM_RSRC2:TGID_X_EN: 1
; COMPUTE_PGM_RSRC2:TGID_Y_EN: 1
; COMPUTE_PGM_RSRC2:TGID_Z_EN: 0
; COMPUTE_PGM_RSRC2:TIDIG_COMP_CNT: 0
; COMPUTE_PGM_RSRC3_GFX90A:ACCUM_OFFSET: 9
; COMPUTE_PGM_RSRC3_GFX90A:TG_SPLIT: 0
	.section	.text._ZN9rocsolver6v33100L22larf_left_kernel_smallILi1024EfiPKPfEEvT1_S5_T2_lS5_lPKT0_lS6_lS5_l,"axG",@progbits,_ZN9rocsolver6v33100L22larf_left_kernel_smallILi1024EfiPKPfEEvT1_S5_T2_lS5_lPKT0_lS6_lS5_l,comdat
	.globl	_ZN9rocsolver6v33100L22larf_left_kernel_smallILi1024EfiPKPfEEvT1_S5_T2_lS5_lPKT0_lS6_lS5_l ; -- Begin function _ZN9rocsolver6v33100L22larf_left_kernel_smallILi1024EfiPKPfEEvT1_S5_T2_lS5_lPKT0_lS6_lS5_l
	.p2align	8
	.type	_ZN9rocsolver6v33100L22larf_left_kernel_smallILi1024EfiPKPfEEvT1_S5_T2_lS5_lPKT0_lS6_lS5_l,@function
_ZN9rocsolver6v33100L22larf_left_kernel_smallILi1024EfiPKPfEEvT1_S5_T2_lS5_lPKT0_lS6_lS5_l: ; @_ZN9rocsolver6v33100L22larf_left_kernel_smallILi1024EfiPKPfEEvT1_S5_T2_lS5_lPKT0_lS6_lS5_l
; %bb.0:
	s_load_dwordx8 s[20:27], s[4:5], 0x28
	s_load_dwordx2 s[28:29], s[4:5], 0x0
	s_mov_b32 s18, s7
	s_ashr_i32 s7, s6, 31
	s_lshl_b64 s[2:3], s[6:7], 3
	s_waitcnt lgkmcnt(0)
	s_add_u32 s0, s24, s2
	s_addc_u32 s1, s25, s3
	s_load_dwordx2 s[10:11], s[0:1], 0x0
	v_cmp_gt_i32_e64 s[0:1], s28, v0
	v_xad_u32 v4, v0, -1, s28
	s_and_saveexec_b64 s[12:13], s[0:1]
	s_cbranch_execz .LBB14_17
; %bb.1:
	s_load_dwordx4 s[36:39], s[4:5], 0x8
	s_load_dword s24, s[4:5], 0x18
	s_movk_i32 s8, 0x5bff
	v_cmp_lt_u32_e32 vcc, s8, v4
                                        ; implicit-def: $vgpr1
                                        ; implicit-def: $sgpr31
	s_waitcnt lgkmcnt(0)
	s_add_u32 s2, s36, s2
	s_addc_u32 s3, s37, s3
	s_load_dwordx2 s[2:3], s[2:3], 0x0
	s_lshl_b64 s[8:9], s[38:39], 2
	s_waitcnt lgkmcnt(0)
	s_add_u32 s19, s2, s8
	s_addc_u32 s25, s3, s9
	s_sub_i32 s2, 1, s28
	s_mul_i32 s2, s2, s24
	s_cmp_lt_i32 s24, 1
	s_cselect_b32 s30, s2, 0
	s_mov_b64 s[2:3], 0
	s_and_saveexec_b64 s[8:9], vcc
	s_xor_b64 s[14:15], exec, s[8:9]
	s_cbranch_execnz .LBB14_4
; %bb.2:
	s_or_saveexec_b64 s[8:9], s[14:15]
	v_mov_b32_e32 v5, s31
	s_xor_b64 exec, exec, s[8:9]
	s_cbranch_execnz .LBB14_14
.LBB14_3:
	s_or_b64 exec, exec, s[8:9]
	s_and_b64 exec, exec, s[2:3]
	s_cbranch_execnz .LBB14_15
	s_branch .LBB14_17
.LBB14_4:
	s_lshl_b32 s31, s24, 10
	s_sub_i32 s8, 0, s31
	s_cmp_lt_i32 s31, 0
	s_cselect_b64 vcc, -1, 0
	s_and_b64 s[2:3], vcc, exec
	v_lshrrev_b32_e32 v5, 10, v4
	s_cselect_b32 s8, s8, s31
	v_mul_lo_u32 v1, v0, s24
	v_mul_hi_u32 v2, s8, v5
	v_add_u32_e32 v1, s30, v1
	v_cmp_eq_u32_e64 s[2:3], 0, v2
	v_mul_lo_u32 v2, s8, v5
	v_add_u32_e32 v3, v1, v2
	v_sub_u32_e32 v2, v1, v2
	v_cmp_gt_i32_e64 s[8:9], v2, v1
	v_cndmask_b32_e64 v2, 0, 1, s[8:9]
	v_cmp_lt_i32_e64 s[8:9], v3, v1
	v_cndmask_b32_e64 v1, 0, 1, s[8:9]
	v_cndmask_b32_e32 v1, v1, v2, vcc
	v_and_b32_e32 v1, 1, v1
	v_cmp_eq_u32_e32 vcc, 1, v1
	s_xor_b64 s[16:17], vcc, -1
	s_mov_b64 s[8:9], -1
	s_and_b64 s[16:17], s[16:17], s[2:3]
	v_mov_b32_e32 v1, v0
	s_and_saveexec_b64 s[2:3], s[16:17]
	s_cbranch_execz .LBB14_13
; %bb.5:
	v_add_u32_e32 v2, -1, v5
	v_or_b32_e32 v1, 0x400, v0
	v_lshrrev_b32_e32 v3, 1, v2
	v_add_u32_e32 v6, 1, v3
	v_cmp_lt_u32_e32 vcc, 5, v2
	v_mov_b32_e32 v10, 0
	v_pk_mov_b32 v[2:3], v[0:1], v[0:1] op_sel:[0,1]
	s_and_saveexec_b64 s[8:9], vcc
	s_cbranch_execz .LBB14_9
; %bb.6:
	v_and_b32_e32 v7, -4, v6
	v_lshlrev_b32_e32 v8, 2, v0
	s_mov_b32 s33, 0
	s_mov_b64 s[16:17], 0
	v_mov_b32_e32 v9, s25
	v_pk_mov_b32 v[2:3], v[0:1], v[0:1] op_sel:[0,1]
.LBB14_7:                               ; =>This Inner Loop Header: Depth=1
	v_mul_lo_u32 v10, v2, s24
	v_add_u32_e32 v11, 0x800, v2
	v_add_u32_e32 v10, s30, v10
	v_mul_lo_u32 v1, v3, s24
	v_mul_lo_u32 v18, v11, s24
	v_ashrrev_i32_e32 v11, 31, v10
	v_add_u32_e32 v13, 0x800, v3
	v_add_u32_e32 v12, s30, v1
	v_lshlrev_b64 v[10:11], 2, v[10:11]
	v_add_u32_e32 v14, 0x1000, v2
	v_add_u32_e32 v15, 0x1000, v3
	v_mul_lo_u32 v1, v13, s24
	v_ashrrev_i32_e32 v13, 31, v12
	v_add_co_u32_e32 v10, vcc, s19, v10
	v_mul_lo_u32 v15, v15, s24
	v_mul_lo_u32 v19, v14, s24
	v_add_u32_e32 v14, s30, v18
	v_lshlrev_b64 v[12:13], 2, v[12:13]
	v_addc_co_u32_e32 v11, vcc, v9, v11, vcc
	v_add_u32_e32 v16, 0x1800, v2
	v_add_u32_e32 v17, 0x1800, v3
	;; [unrolled: 1-line block ×3, first 2 shown]
	v_ashrrev_i32_e32 v15, 31, v14
	v_add_co_u32_e32 v12, vcc, s19, v12
	v_mul_lo_u32 v17, v17, s24
	v_mul_lo_u32 v21, v16, s24
	v_add_u32_e32 v16, s30, v1
	v_addc_co_u32_e32 v13, vcc, v9, v13, vcc
	v_lshlrev_b64 v[14:15], 2, v[14:15]
	v_add_u32_e32 v24, s30, v17
	v_ashrrev_i32_e32 v17, 31, v16
	v_add_co_u32_e32 v14, vcc, s19, v14
	v_add_u32_e32 v18, s30, v19
	v_lshlrev_b64 v[16:17], 2, v[16:17]
	v_addc_co_u32_e32 v15, vcc, v9, v15, vcc
	v_ashrrev_i32_e32 v19, 31, v18
	v_add_co_u32_e32 v16, vcc, s19, v16
	v_lshlrev_b64 v[18:19], 2, v[18:19]
	v_addc_co_u32_e32 v17, vcc, v9, v17, vcc
	v_add_u32_e32 v22, s30, v21
	v_ashrrev_i32_e32 v21, 31, v20
	v_add_co_u32_e32 v18, vcc, s19, v18
	v_lshlrev_b64 v[20:21], 2, v[20:21]
	v_addc_co_u32_e32 v19, vcc, v9, v19, vcc
	v_ashrrev_i32_e32 v23, 31, v22
	v_add_co_u32_e32 v20, vcc, s19, v20
	v_lshlrev_b64 v[22:23], 2, v[22:23]
	v_addc_co_u32_e32 v21, vcc, v9, v21, vcc
	;; [unrolled: 4-line block ×3, first 2 shown]
	v_add_co_u32_e32 v24, vcc, s19, v24
	v_addc_co_u32_e32 v25, vcc, v9, v25, vcc
	global_load_dword v1, v[10:11], off
	global_load_dword v26, v[12:13], off
	;; [unrolled: 1-line block ×8, first 2 shown]
	v_add_u32_e32 v7, -4, v7
	s_add_i32 s33, s33, 8
	v_cmp_eq_u32_e32 vcc, 0, v7
	v_add_u32_e32 v3, 0x2000, v3
	v_add_u32_e32 v2, 0x2000, v2
	v_mov_b32_e32 v10, s33
	s_or_b64 s[16:17], vcc, s[16:17]
	s_waitcnt vmcnt(6)
	ds_write2st64_b32 v8, v1, v26 offset1:16
	s_waitcnt vmcnt(4)
	ds_write2st64_b32 v8, v27, v28 offset0:32 offset1:48
	s_waitcnt vmcnt(2)
	ds_write2st64_b32 v8, v29, v30 offset0:64 offset1:80
	;; [unrolled: 2-line block ×3, first 2 shown]
	v_add_u32_e32 v8, 0x8000, v8
	s_andn2_b64 exec, exec, s[16:17]
	s_cbranch_execnz .LBB14_7
; %bb.8:
	s_or_b64 exec, exec, s[16:17]
.LBB14_9:
	s_or_b64 exec, exec, s[8:9]
	v_and_b32_e32 v1, 3, v6
	v_cmp_ne_u32_e32 vcc, 0, v1
	s_and_saveexec_b64 s[8:9], vcc
	s_cbranch_execz .LBB14_12
; %bb.10:
	v_lshlrev_b32_e32 v6, 2, v0
	v_lshl_or_b32 v6, v10, 12, v6
	s_mov_b64 s[16:17], 0
	v_mov_b32_e32 v7, s25
.LBB14_11:                              ; =>This Inner Loop Header: Depth=1
	v_mul_lo_u32 v8, v2, s24
	v_mul_lo_u32 v9, v3, s24
	v_add_u32_e32 v8, s30, v8
	v_add_u32_e32 v10, s30, v9
	v_ashrrev_i32_e32 v9, 31, v8
	v_lshlrev_b64 v[8:9], 2, v[8:9]
	v_ashrrev_i32_e32 v11, 31, v10
	v_add_co_u32_e32 v8, vcc, s19, v8
	v_lshlrev_b64 v[10:11], 2, v[10:11]
	v_addc_co_u32_e32 v9, vcc, v7, v9, vcc
	v_add_co_u32_e32 v10, vcc, s19, v10
	v_addc_co_u32_e32 v11, vcc, v7, v11, vcc
	global_load_dword v12, v[8:9], off
	global_load_dword v13, v[10:11], off
	v_add_u32_e32 v1, -1, v1
	v_cmp_eq_u32_e32 vcc, 0, v1
	v_add_u32_e32 v3, 0x800, v3
	v_add_u32_e32 v2, 0x800, v2
	s_or_b64 s[16:17], vcc, s[16:17]
	s_waitcnt vmcnt(0)
	ds_write2st64_b32 v6, v12, v13 offset1:16
	v_add_u32_e32 v6, 0x2000, v6
	s_andn2_b64 exec, exec, s[16:17]
	s_cbranch_execnz .LBB14_11
.LBB14_12:
	s_or_b64 exec, exec, s[8:9]
	v_add_u32_e32 v2, 1, v5
	v_and_b32_e32 v3, 0x7ffffe, v2
	v_cmp_ne_u32_e32 vcc, v2, v3
	v_lshl_or_b32 v1, v3, 10, v0
	s_orn2_b64 s[8:9], vcc, exec
.LBB14_13:
	s_or_b64 exec, exec, s[2:3]
	s_and_b64 s[2:3], s[8:9], exec
	s_or_saveexec_b64 s[8:9], s[14:15]
	v_mov_b32_e32 v5, s31
	s_xor_b64 exec, exec, s[8:9]
	s_cbranch_execz .LBB14_3
.LBB14_14:
	s_lshl_b32 s14, s24, 10
	v_mov_b32_e32 v5, s14
	s_or_b64 s[2:3], s[2:3], exec
	v_mov_b32_e32 v1, v0
	s_or_b64 exec, exec, s[8:9]
	s_and_b64 exec, exec, s[2:3]
	s_cbranch_execz .LBB14_17
.LBB14_15:
	v_mul_lo_u32 v2, v1, s24
	v_add_u32_e32 v2, s30, v2
	v_lshlrev_b32_e32 v6, 2, v1
	s_mov_b64 s[2:3], 0
	v_mov_b32_e32 v7, s25
.LBB14_16:                              ; =>This Inner Loop Header: Depth=1
	v_ashrrev_i32_e32 v3, 31, v2
	v_lshlrev_b64 v[8:9], 2, v[2:3]
	v_add_co_u32_e32 v8, vcc, s19, v8
	v_addc_co_u32_e32 v9, vcc, v7, v9, vcc
	global_load_dword v3, v[8:9], off
	v_add_u32_e32 v1, 0x400, v1
	v_cmp_le_i32_e32 vcc, s28, v1
	v_add_u32_e32 v2, v2, v5
	s_or_b64 s[2:3], vcc, s[2:3]
	s_waitcnt vmcnt(0)
	ds_write_b32 v6, v3
	v_add_u32_e32 v6, 0x1000, v6
	s_andn2_b64 exec, exec, s[2:3]
	s_cbranch_execnz .LBB14_16
.LBB14_17:
	s_or_b64 exec, exec, s[12:13]
	s_cmp_ge_i32 s18, s29
	s_waitcnt lgkmcnt(0)
	s_barrier
	s_cbranch_scc1 .LBB14_55
; %bb.18:
	s_lshl_b64 s[2:3], s[26:27], 2
	s_add_u32 s33, s10, s2
	s_addc_u32 s40, s11, s3
	s_mul_i32 s2, s6, s23
	s_mul_hi_u32 s3, s6, s22
	s_add_i32 s2, s3, s2
	s_mul_i32 s3, s7, s22
	s_add_i32 s3, s2, s3
	s_mul_i32 s2, s6, s22
	s_load_dword s19, s[4:5], 0x48
	s_lshl_b64 s[2:3], s[2:3], 2
	s_add_u32 s20, s20, s2
	v_and_b32_e32 v1, 63, v0
	s_addc_u32 s21, s21, s3
	v_cmp_eq_u32_e64 s[2:3], 0, v1
	v_lshrrev_b32_e32 v1, 10, v4
	v_add_u32_e32 v2, 1, v1
	v_add_u32_e32 v3, -1, v1
	s_movk_i32 s8, 0x1bff
	s_movk_i32 s10, 0x3ff
	s_cmp_gt_i32 s28, 1
	v_lshrrev_b32_e32 v1, 1, v3
	v_cmp_lt_u32_e64 s[8:9], s8, v4
	v_cmp_lt_u32_e64 s[10:11], s10, v4
	v_and_b32_e32 v4, 0x7ffffe, v2
	v_lshlrev_b32_e32 v14, 2, v0
	s_cselect_b64 s[22:23], -1, 0
	v_add_u32_e32 v5, 1, v1
	v_and_b32_e32 v6, 7, v2
	v_cmp_ne_u32_e64 s[16:17], v2, v4
	v_mov_b32_e32 v2, s40
	v_add_co_u32_e32 v15, vcc, s33, v14
	s_waitcnt lgkmcnt(0)
	s_lshl_b32 s41, s19, 6
	v_and_b32_e32 v12, 3, v5
	v_addc_co_u32_e32 v16, vcc, 0, v2, vcc
	s_add_u32 s42, s33, 0x7000
	v_mbcnt_lo_u32_b32 v2, -1, 0
	v_lshrrev_b32_e32 v10, 4, v0
	v_cmp_eq_u32_e64 s[4:5], 0, v0
	v_cmp_ne_u32_e64 s[6:7], 0, v6
	v_lshl_or_b32 v11, v4, 10, v0
	v_or_b32_e32 v1, 0x400, v0
	v_cmp_lt_u32_e64 s[12:13], 5, v3
	v_and_b32_e32 v13, -4, v5
	v_cmp_ne_u32_e64 s[14:15], 0, v12
	v_mov_b32_e32 v3, 0
	s_mul_i32 s24, s18, s19
	v_lshlrev_b32_e32 v17, 2, v6
	s_addc_u32 s43, s40, 0
	v_mov_b32_e32 v18, 0x2004
	v_mov_b32_e32 v19, 0x200c
	v_mov_b32_e32 v20, 0x2014
	v_mov_b32_e32 v21, 0x201c
	v_mov_b32_e32 v22, 0x2024
	v_mov_b32_e32 v23, 0x202c
	v_mov_b32_e32 v24, 0x2034
	v_mbcnt_hi_u32_b32 v25, -1, v2
	s_branch .LBB14_20
.LBB14_19:                              ;   in Loop: Header=BB14_20 Depth=1
	s_or_b64 exec, exec, s[30:31]
	s_add_i32 s18, s18, 64
	s_add_i32 s24, s24, s41
	s_cmp_ge_i32 s18, s29
	s_cbranch_scc1 .LBB14_55
.LBB14_20:                              ; =>This Loop Header: Depth=1
                                        ;     Child Loop BB14_23 Depth 2
                                        ;     Child Loop BB14_27 Depth 2
	;; [unrolled: 1-line block ×5, first 2 shown]
	s_ashr_i32 s25, s24, 31
	s_lshl_b64 s[26:27], s[24:25], 2
	v_mov_b32_e32 v6, 0
	s_and_saveexec_b64 s[30:31], s[0:1]
	s_cbranch_execz .LBB14_30
; %bb.21:                               ;   in Loop: Header=BB14_20 Depth=1
	v_mov_b32_e32 v6, 0
	v_mov_b32_e32 v2, v0
	s_and_saveexec_b64 s[34:35], s[6:7]
	s_cbranch_execz .LBB14_25
; %bb.22:                               ;   in Loop: Header=BB14_20 Depth=1
	v_mov_b32_e32 v2, s27
	v_add_co_u32_e32 v4, vcc, s26, v15
	v_addc_co_u32_e32 v5, vcc, v16, v2, vcc
	s_mov_b64 s[36:37], 0
	v_mov_b32_e32 v6, 0
	v_mov_b32_e32 v7, v17
	v_mov_b32_e32 v8, v14
	v_mov_b32_e32 v2, v0
.LBB14_23:                              ;   Parent Loop BB14_20 Depth=1
                                        ; =>  This Inner Loop Header: Depth=2
	global_load_dword v9, v[4:5], off
	ds_read_b32 v26, v8
	v_add_co_u32_e32 v4, vcc, 0x1000, v4
	v_add_u32_e32 v7, -4, v7
	v_addc_co_u32_e32 v5, vcc, 0, v5, vcc
	v_cmp_eq_u32_e32 vcc, 0, v7
	v_add_u32_e32 v2, 0x400, v2
	v_add_u32_e32 v8, 0x1000, v8
	s_or_b64 s[36:37], vcc, s[36:37]
	s_waitcnt vmcnt(0) lgkmcnt(0)
	v_mul_f32_e32 v9, v26, v9
	v_add_f32_e32 v6, v6, v9
	s_andn2_b64 exec, exec, s[36:37]
	s_cbranch_execnz .LBB14_23
; %bb.24:                               ;   in Loop: Header=BB14_20 Depth=1
	s_or_b64 exec, exec, s[36:37]
.LBB14_25:                              ;   in Loop: Header=BB14_20 Depth=1
	s_or_b64 exec, exec, s[34:35]
	s_and_saveexec_b64 s[34:35], s[8:9]
	s_cbranch_execz .LBB14_29
; %bb.26:                               ;   in Loop: Header=BB14_20 Depth=1
	s_add_u32 s25, s42, s26
	v_lshlrev_b64 v[4:5], 2, v[2:3]
	s_addc_u32 s36, s43, s27
	v_mov_b32_e32 v7, s36
	v_add_co_u32_e32 v4, vcc, s25, v4
	v_addc_co_u32_e32 v5, vcc, v7, v5, vcc
	v_lshlrev_b32_e32 v7, 2, v2
	s_mov_b64 s[36:37], 0
.LBB14_27:                              ;   Parent Loop BB14_20 Depth=1
                                        ; =>  This Inner Loop Header: Depth=2
	v_add_co_u32_e32 v8, vcc, 0xffff9000, v4
	v_addc_co_u32_e32 v9, vcc, -1, v5, vcc
	v_add_co_u32_e32 v26, vcc, 0xffffa000, v4
	v_addc_co_u32_e32 v27, vcc, -1, v5, vcc
	global_load_dword v32, v[8:9], off
	v_add_co_u32_e32 v8, vcc, 0xffffb000, v4
	v_addc_co_u32_e32 v9, vcc, -1, v5, vcc
	v_add_co_u32_e32 v28, vcc, 0xffffc000, v4
	global_load_dword v33, v[26:27], off
	global_load_dword v34, v[8:9], off
	v_addc_co_u32_e32 v29, vcc, -1, v5, vcc
	v_add_co_u32_e32 v8, vcc, 0xffffd000, v4
	v_addc_co_u32_e32 v9, vcc, -1, v5, vcc
	global_load_dword v35, v[28:29], off
	global_load_dword v36, v[8:9], off
	v_add_co_u32_e32 v26, vcc, 0xffffe000, v4
	v_addc_co_u32_e32 v27, vcc, -1, v5, vcc
	global_load_dword v37, v[26:27], off
	global_load_dword v38, v[4:5], off offset:-4096
	global_load_dword v39, v[4:5], off
	ds_read2st64_b32 v[8:9], v7 offset1:16
	ds_read2st64_b32 v[26:27], v7 offset0:32 offset1:48
	ds_read2st64_b32 v[28:29], v7 offset0:64 offset1:80
	;; [unrolled: 1-line block ×3, first 2 shown]
	v_add_u32_e32 v2, 0x2000, v2
	v_cmp_le_i32_e32 vcc, s28, v2
	s_or_b64 s[36:37], vcc, s[36:37]
	v_add_co_u32_e32 v4, vcc, 0x8000, v4
	v_add_u32_e32 v7, 0x8000, v7
	v_addc_co_u32_e32 v5, vcc, 0, v5, vcc
	s_waitcnt vmcnt(7) lgkmcnt(3)
	v_mul_f32_e32 v8, v8, v32
	v_add_f32_e32 v6, v6, v8
	s_waitcnt vmcnt(6)
	v_mul_f32_e32 v8, v9, v33
	v_add_f32_e32 v6, v6, v8
	s_waitcnt vmcnt(5) lgkmcnt(2)
	v_mul_f32_e32 v8, v26, v34
	v_add_f32_e32 v6, v6, v8
	s_waitcnt vmcnt(4)
	v_mul_f32_e32 v8, v27, v35
	v_add_f32_e32 v6, v6, v8
	s_waitcnt vmcnt(3) lgkmcnt(1)
	v_mul_f32_e32 v8, v28, v36
	v_add_f32_e32 v6, v6, v8
	s_waitcnt vmcnt(2)
	v_mul_f32_e32 v8, v29, v37
	s_waitcnt vmcnt(1) lgkmcnt(0)
	v_mul_f32_e32 v9, v30, v38
	v_add_f32_e32 v6, v6, v8
	s_waitcnt vmcnt(0)
	v_mul_f32_e32 v26, v31, v39
	v_add_f32_e32 v6, v6, v9
	v_add_f32_e32 v6, v6, v26
	s_andn2_b64 exec, exec, s[36:37]
	s_cbranch_execnz .LBB14_27
; %bb.28:                               ;   in Loop: Header=BB14_20 Depth=1
	s_or_b64 exec, exec, s[36:37]
.LBB14_29:                              ;   in Loop: Header=BB14_20 Depth=1
	s_or_b64 exec, exec, s[34:35]
.LBB14_30:                              ;   in Loop: Header=BB14_20 Depth=1
	s_or_b64 exec, exec, s[30:31]
	s_and_b64 vcc, exec, s[22:23]
	s_cbranch_vccz .LBB14_37
; %bb.31:                               ;   in Loop: Header=BB14_20 Depth=1
	v_and_b32_e32 v2, 63, v25
	v_cmp_ne_u32_e32 vcc, 63, v2
	v_addc_co_u32_e32 v4, vcc, 0, v25, vcc
	v_lshlrev_b32_e32 v4, 2, v4
	ds_bpermute_b32 v4, v4, v6
	v_cmp_gt_u32_e32 vcc, 62, v2
	v_cndmask_b32_e64 v5, 0, 1, vcc
	v_lshlrev_b32_e32 v5, 1, v5
	v_add_lshl_u32 v5, v5, v25, 2
	s_waitcnt lgkmcnt(0)
	v_add_f32_e32 v4, v6, v4
	ds_bpermute_b32 v5, v5, v4
	v_cmp_gt_u32_e32 vcc, 60, v2
	v_cndmask_b32_e64 v7, 0, 1, vcc
	v_cmp_gt_u32_e32 vcc, 56, v2
	s_waitcnt lgkmcnt(0)
	v_add_f32_e32 v4, v4, v5
	v_lshlrev_b32_e32 v5, 2, v7
	v_add_lshl_u32 v5, v5, v25, 2
	ds_bpermute_b32 v5, v5, v4
	v_cndmask_b32_e64 v7, 0, 1, vcc
	v_cmp_gt_u32_e32 vcc, 48, v2
	s_waitcnt lgkmcnt(0)
	v_add_f32_e32 v4, v4, v5
	v_lshlrev_b32_e32 v5, 3, v7
	v_add_lshl_u32 v5, v5, v25, 2
	ds_bpermute_b32 v5, v5, v4
	v_cndmask_b32_e64 v7, 0, 1, vcc
	v_cmp_gt_u32_e32 vcc, 32, v2
	v_cndmask_b32_e64 v2, 0, 1, vcc
	v_lshlrev_b32_e32 v2, 5, v2
	s_waitcnt lgkmcnt(0)
	v_add_f32_e32 v4, v4, v5
	v_lshlrev_b32_e32 v5, 4, v7
	v_add_lshl_u32 v5, v5, v25, 2
	ds_bpermute_b32 v5, v5, v4
	v_add_lshl_u32 v2, v2, v25, 2
	s_waitcnt lgkmcnt(0)
	v_add_f32_e32 v4, v4, v5
	ds_bpermute_b32 v2, v2, v4
	s_waitcnt lgkmcnt(0)
	v_add_f32_e32 v2, v4, v2
	s_and_saveexec_b64 s[30:31], s[2:3]
	s_cbranch_execz .LBB14_33
; %bb.32:                               ;   in Loop: Header=BB14_20 Depth=1
	ds_write_b32 v10, v2 offset:8192
.LBB14_33:                              ;   in Loop: Header=BB14_20 Depth=1
	s_or_b64 exec, exec, s[30:31]
	s_mov_b64 s[34:35], 0
	s_mov_b64 s[30:31], 0
	s_waitcnt lgkmcnt(0)
	s_barrier
	s_waitcnt lgkmcnt(0)
                                        ; implicit-def: $vgpr4
	s_and_saveexec_b64 s[36:37], s[4:5]
	s_xor_b64 s[36:37], exec, s[36:37]
	s_cbranch_execz .LBB14_35
; %bb.34:                               ;   in Loop: Header=BB14_20 Depth=1
	ds_read2_b32 v[4:5], v18 offset1:1
	ds_read2_b32 v[8:9], v19 offset1:1
	;; [unrolled: 1-line block ×4, first 2 shown]
	s_mov_b64 s[30:31], exec
	s_waitcnt lgkmcnt(3)
	v_add_f32_e32 v2, v2, v4
	v_add_f32_e32 v2, v2, v5
	s_waitcnt lgkmcnt(2)
	v_add_f32_e32 v2, v2, v8
	v_add_f32_e32 v2, v2, v9
	ds_read2_b32 v[4:5], v22 offset1:1
	s_waitcnt lgkmcnt(2)
	v_add_f32_e32 v2, v2, v26
	v_add_f32_e32 v2, v2, v27
	s_waitcnt lgkmcnt(1)
	v_add_f32_e32 v2, v2, v28
	v_add_f32_e32 v2, v2, v29
	ds_read2_b32 v[8:9], v23 offset1:1
	ds_read2_b32 v[26:27], v24 offset1:1
	ds_read_b32 v7, v3 offset:8252
	s_waitcnt lgkmcnt(3)
	v_add_f32_e32 v2, v2, v4
	v_add_f32_e32 v2, v2, v5
	s_waitcnt lgkmcnt(2)
	v_add_f32_e32 v2, v2, v8
	v_add_f32_e32 v2, v2, v9
	;; [unrolled: 3-line block ×3, first 2 shown]
	s_waitcnt lgkmcnt(0)
	v_add_f32_e32 v4, v2, v7
.LBB14_35:                              ;   in Loop: Header=BB14_20 Depth=1
	s_or_b64 exec, exec, s[36:37]
	s_and_b64 vcc, exec, s[34:35]
	s_cbranch_vccnz .LBB14_38
.LBB14_36:                              ;   in Loop: Header=BB14_20 Depth=1
	v_mov_b32_e32 v6, v4
	s_and_saveexec_b64 s[34:35], s[30:31]
	s_cbranch_execnz .LBB14_39
	s_branch .LBB14_40
.LBB14_37:                              ;   in Loop: Header=BB14_20 Depth=1
	s_mov_b64 s[30:31], 0
                                        ; implicit-def: $vgpr4
	s_cbranch_execz .LBB14_36
.LBB14_38:                              ;   in Loop: Header=BB14_20 Depth=1
	s_andn2_b64 s[30:31], s[30:31], exec
	s_and_b64 s[34:35], s[4:5], exec
	s_or_b64 s[30:31], s[30:31], s[34:35]
	s_and_saveexec_b64 s[34:35], s[30:31]
	s_cbranch_execz .LBB14_40
.LBB14_39:                              ;   in Loop: Header=BB14_20 Depth=1
	ds_write_b32 v3, v6 offset:8192
.LBB14_40:                              ;   in Loop: Header=BB14_20 Depth=1
	s_or_b64 exec, exec, s[34:35]
	s_waitcnt lgkmcnt(0)
	s_barrier
	s_and_saveexec_b64 s[30:31], s[0:1]
	s_cbranch_execz .LBB14_19
; %bb.41:                               ;   in Loop: Header=BB14_20 Depth=1
	global_load_dword v2, v3, s[20:21]
	ds_read_b32 v4, v3 offset:8192
	s_mov_b64 s[36:37], -1
	v_mov_b32_e32 v6, v0
	s_waitcnt vmcnt(0) lgkmcnt(0)
	v_mul_f32_e64 v4, v4, -v2
	v_mov_b32_e32 v2, v14
	s_and_saveexec_b64 s[34:35], s[10:11]
	s_cbranch_execz .LBB14_52
; %bb.42:                               ;   in Loop: Header=BB14_20 Depth=1
	s_mul_i32 s25, s18, s19
	v_mov_b32_e32 v5, v4
	v_mov_b32_e32 v9, 0
	v_pk_mov_b32 v[6:7], v[0:1], v[0:1] op_sel:[0,1]
	s_and_saveexec_b64 s[36:37], s[12:13]
	s_cbranch_execz .LBB14_46
; %bb.43:                               ;   in Loop: Header=BB14_20 Depth=1
	s_mov_b32 s44, 0
	s_mov_b64 s[38:39], 0
	v_mov_b32_e32 v2, v13
	v_mov_b32_e32 v8, v14
	v_pk_mov_b32 v[6:7], v[0:1], v[0:1] op_sel:[0,1]
.LBB14_44:                              ;   Parent Loop BB14_20 Depth=1
                                        ; =>  This Inner Loop Header: Depth=2
	v_add_u32_e32 v26, s25, v6
	v_ashrrev_i32_e32 v27, 31, v26
	v_add_u32_e32 v28, s25, v7
	v_lshlrev_b64 v[30:31], 2, v[26:27]
	v_mov_b32_e32 v9, s40
	v_ashrrev_i32_e32 v29, 31, v28
	v_add_co_u32_e32 v30, vcc, s33, v30
	v_lshlrev_b64 v[32:33], 2, v[28:29]
	v_addc_co_u32_e32 v31, vcc, v9, v31, vcc
	v_add_co_u32_e32 v32, vcc, s33, v32
	v_addc_co_u32_e32 v33, vcc, v9, v33, vcc
	global_load_dword v34, v[30:31], off
	global_load_dword v35, v[32:33], off
	ds_read2st64_b32 v[36:37], v8 offset1:16
	v_add_u32_e32 v38, 0x800, v26
	v_ashrrev_i32_e32 v39, 31, v38
	v_add_u32_e32 v40, 0x800, v28
	v_lshlrev_b64 v[38:39], 2, v[38:39]
	v_ashrrev_i32_e32 v41, 31, v40
	v_add_co_u32_e32 v38, vcc, s33, v38
	v_lshlrev_b64 v[40:41], 2, v[40:41]
	v_addc_co_u32_e32 v39, vcc, v9, v39, vcc
	v_add_co_u32_e32 v40, vcc, s33, v40
	v_addc_co_u32_e32 v41, vcc, v9, v41, vcc
	v_add_u32_e32 v2, -4, v2
	s_add_i32 s44, s44, 8
	v_add_u32_e32 v7, 0x2000, v7
	v_add_u32_e32 v6, 0x2000, v6
	s_waitcnt vmcnt(0) lgkmcnt(0)
	v_pk_fma_f32 v[34:35], v[4:5], v[36:37], v[34:35]
	global_store_dword v[30:31], v34, off
	global_store_dword v[32:33], v35, off
	global_load_dword v30, v[38:39], off
	s_nop 0
	global_load_dword v31, v[40:41], off
	ds_read2st64_b32 v[32:33], v8 offset0:32 offset1:48
	v_add_u32_e32 v34, 0x1000, v26
	v_ashrrev_i32_e32 v35, 31, v34
	v_add_u32_e32 v36, 0x1000, v28
	v_lshlrev_b64 v[34:35], 2, v[34:35]
	v_ashrrev_i32_e32 v37, 31, v36
	v_add_co_u32_e32 v34, vcc, s33, v34
	v_lshlrev_b64 v[36:37], 2, v[36:37]
	v_addc_co_u32_e32 v35, vcc, v9, v35, vcc
	v_add_co_u32_e32 v36, vcc, s33, v36
	v_addc_co_u32_e32 v37, vcc, v9, v37, vcc
	v_add_u32_e32 v26, 0x1800, v26
	v_ashrrev_i32_e32 v27, 31, v26
	v_add_u32_e32 v28, 0x1800, v28
	v_lshlrev_b64 v[26:27], 2, v[26:27]
	v_ashrrev_i32_e32 v29, 31, v28
	v_add_co_u32_e32 v26, vcc, s33, v26
	v_lshlrev_b64 v[28:29], 2, v[28:29]
	v_addc_co_u32_e32 v27, vcc, v9, v27, vcc
	v_add_co_u32_e32 v28, vcc, s33, v28
	v_addc_co_u32_e32 v29, vcc, v9, v29, vcc
	v_cmp_eq_u32_e32 vcc, 0, v2
	v_mov_b32_e32 v9, s44
	s_or_b64 s[38:39], vcc, s[38:39]
	s_waitcnt vmcnt(0) lgkmcnt(0)
	v_pk_fma_f32 v[30:31], v[4:5], v[32:33], v[30:31]
	global_store_dword v[38:39], v30, off
	global_store_dword v[40:41], v31, off
	global_load_dword v30, v[34:35], off
	s_nop 0
	global_load_dword v31, v[36:37], off
	ds_read2st64_b32 v[32:33], v8 offset0:64 offset1:80
	s_waitcnt vmcnt(0) lgkmcnt(0)
	v_pk_fma_f32 v[30:31], v[4:5], v[32:33], v[30:31]
	global_store_dword v[34:35], v30, off
	global_store_dword v[36:37], v31, off
	global_load_dword v30, v[26:27], off
	s_nop 0
	global_load_dword v31, v[28:29], off
	ds_read2st64_b32 v[32:33], v8 offset0:96 offset1:112
	v_add_u32_e32 v8, 0x8000, v8
	s_waitcnt vmcnt(0) lgkmcnt(0)
	v_pk_fma_f32 v[30:31], v[4:5], v[32:33], v[30:31]
	global_store_dword v[26:27], v30, off
	global_store_dword v[28:29], v31, off
	s_andn2_b64 exec, exec, s[38:39]
	s_cbranch_execnz .LBB14_44
; %bb.45:                               ;   in Loop: Header=BB14_20 Depth=1
	s_or_b64 exec, exec, s[38:39]
.LBB14_46:                              ;   in Loop: Header=BB14_20 Depth=1
	s_or_b64 exec, exec, s[36:37]
	s_and_saveexec_b64 s[36:37], s[14:15]
	s_cbranch_execz .LBB14_49
; %bb.47:                               ;   in Loop: Header=BB14_20 Depth=1
	v_lshl_or_b32 v2, v9, 12, v14
	s_mov_b64 s[38:39], 0
	v_mov_b32_e32 v8, v12
.LBB14_48:                              ;   Parent Loop BB14_20 Depth=1
                                        ; =>  This Inner Loop Header: Depth=2
	v_add_u32_e32 v26, s25, v6
	v_ashrrev_i32_e32 v27, 31, v26
	v_add_u32_e32 v28, s25, v7
	v_lshlrev_b64 v[26:27], 2, v[26:27]
	v_mov_b32_e32 v9, s40
	v_ashrrev_i32_e32 v29, 31, v28
	v_add_co_u32_e32 v26, vcc, s33, v26
	v_lshlrev_b64 v[28:29], 2, v[28:29]
	v_addc_co_u32_e32 v27, vcc, v9, v27, vcc
	v_add_co_u32_e32 v28, vcc, s33, v28
	v_addc_co_u32_e32 v29, vcc, v9, v29, vcc
	global_load_dword v30, v[26:27], off
	global_load_dword v31, v[28:29], off
	ds_read2st64_b32 v[32:33], v2 offset1:16
	v_add_u32_e32 v8, -1, v8
	v_cmp_eq_u32_e32 vcc, 0, v8
	v_add_u32_e32 v7, 0x800, v7
	v_add_u32_e32 v6, 0x800, v6
	;; [unrolled: 1-line block ×3, first 2 shown]
	s_or_b64 s[38:39], vcc, s[38:39]
	s_waitcnt vmcnt(0) lgkmcnt(0)
	v_pk_fma_f32 v[30:31], v[4:5], v[32:33], v[30:31]
	global_store_dword v[26:27], v30, off
	global_store_dword v[28:29], v31, off
	s_andn2_b64 exec, exec, s[38:39]
	s_cbranch_execnz .LBB14_48
.LBB14_49:                              ;   in Loop: Header=BB14_20 Depth=1
	s_or_b64 exec, exec, s[36:37]
	s_mov_b64 s[36:37], 0
                                        ; implicit-def: $vgpr2
	s_and_saveexec_b64 s[38:39], s[16:17]
	s_xor_b64 s[38:39], exec, s[38:39]
; %bb.50:                               ;   in Loop: Header=BB14_20 Depth=1
	s_mov_b64 s[36:37], exec
	v_lshlrev_b32_e32 v2, 2, v11
; %bb.51:                               ;   in Loop: Header=BB14_20 Depth=1
	s_or_b64 exec, exec, s[38:39]
	s_orn2_b64 s[36:37], s[36:37], exec
	v_mov_b32_e32 v6, v11
.LBB14_52:                              ;   in Loop: Header=BB14_20 Depth=1
	s_or_b64 exec, exec, s[34:35]
	s_and_b64 exec, exec, s[36:37]
	s_cbranch_execz .LBB14_19
; %bb.53:                               ;   in Loop: Header=BB14_20 Depth=1
	v_ashrrev_i32_e32 v7, 31, v6
	s_add_u32 s25, s33, s26
	v_lshlrev_b64 v[8:9], 2, v[6:7]
	s_addc_u32 s26, s40, s27
	v_mov_b32_e32 v5, s26
	v_add_co_u32_e32 v8, vcc, s25, v8
	v_addc_co_u32_e32 v9, vcc, v5, v9, vcc
	s_mov_b64 s[26:27], 0
.LBB14_54:                              ;   Parent Loop BB14_20 Depth=1
                                        ; =>  This Inner Loop Header: Depth=2
	global_load_dword v5, v[8:9], off
	ds_read_b32 v7, v2
	v_add_u32_e32 v6, 0x400, v6
	v_cmp_le_i32_e32 vcc, s28, v6
	s_or_b64 s[26:27], vcc, s[26:27]
	v_add_u32_e32 v2, 0x1000, v2
	s_waitcnt vmcnt(0) lgkmcnt(0)
	v_fmac_f32_e32 v5, v4, v7
	global_store_dword v[8:9], v5, off
	v_add_co_u32_e32 v8, vcc, 0x1000, v8
	v_addc_co_u32_e32 v9, vcc, 0, v9, vcc
	s_andn2_b64 exec, exec, s[26:27]
	s_cbranch_execnz .LBB14_54
	s_branch .LBB14_19
.LBB14_55:
	s_endpgm
	.section	.rodata,"a",@progbits
	.p2align	6, 0x0
	.amdhsa_kernel _ZN9rocsolver6v33100L22larf_left_kernel_smallILi1024EfiPKPfEEvT1_S5_T2_lS5_lPKT0_lS6_lS5_l
		.amdhsa_group_segment_fixed_size 12288
		.amdhsa_private_segment_fixed_size 0
		.amdhsa_kernarg_size 88
		.amdhsa_user_sgpr_count 6
		.amdhsa_user_sgpr_private_segment_buffer 1
		.amdhsa_user_sgpr_dispatch_ptr 0
		.amdhsa_user_sgpr_queue_ptr 0
		.amdhsa_user_sgpr_kernarg_segment_ptr 1
		.amdhsa_user_sgpr_dispatch_id 0
		.amdhsa_user_sgpr_flat_scratch_init 0
		.amdhsa_user_sgpr_kernarg_preload_length 0
		.amdhsa_user_sgpr_kernarg_preload_offset 0
		.amdhsa_user_sgpr_private_segment_size 0
		.amdhsa_uses_dynamic_stack 0
		.amdhsa_system_sgpr_private_segment_wavefront_offset 0
		.amdhsa_system_sgpr_workgroup_id_x 1
		.amdhsa_system_sgpr_workgroup_id_y 1
		.amdhsa_system_sgpr_workgroup_id_z 0
		.amdhsa_system_sgpr_workgroup_info 0
		.amdhsa_system_vgpr_workitem_id 0
		.amdhsa_next_free_vgpr 42
		.amdhsa_next_free_sgpr 45
		.amdhsa_accum_offset 44
		.amdhsa_reserve_vcc 1
		.amdhsa_reserve_flat_scratch 0
		.amdhsa_float_round_mode_32 0
		.amdhsa_float_round_mode_16_64 0
		.amdhsa_float_denorm_mode_32 3
		.amdhsa_float_denorm_mode_16_64 3
		.amdhsa_dx10_clamp 1
		.amdhsa_ieee_mode 1
		.amdhsa_fp16_overflow 0
		.amdhsa_tg_split 0
		.amdhsa_exception_fp_ieee_invalid_op 0
		.amdhsa_exception_fp_denorm_src 0
		.amdhsa_exception_fp_ieee_div_zero 0
		.amdhsa_exception_fp_ieee_overflow 0
		.amdhsa_exception_fp_ieee_underflow 0
		.amdhsa_exception_fp_ieee_inexact 0
		.amdhsa_exception_int_div_zero 0
	.end_amdhsa_kernel
	.section	.text._ZN9rocsolver6v33100L22larf_left_kernel_smallILi1024EfiPKPfEEvT1_S5_T2_lS5_lPKT0_lS6_lS5_l,"axG",@progbits,_ZN9rocsolver6v33100L22larf_left_kernel_smallILi1024EfiPKPfEEvT1_S5_T2_lS5_lPKT0_lS6_lS5_l,comdat
.Lfunc_end14:
	.size	_ZN9rocsolver6v33100L22larf_left_kernel_smallILi1024EfiPKPfEEvT1_S5_T2_lS5_lPKT0_lS6_lS5_l, .Lfunc_end14-_ZN9rocsolver6v33100L22larf_left_kernel_smallILi1024EfiPKPfEEvT1_S5_T2_lS5_lPKT0_lS6_lS5_l
                                        ; -- End function
	.section	.AMDGPU.csdata,"",@progbits
; Kernel info:
; codeLenInByte = 3596
; NumSgprs: 49
; NumVgprs: 42
; NumAgprs: 0
; TotalNumVgprs: 42
; ScratchSize: 0
; MemoryBound: 0
; FloatMode: 240
; IeeeMode: 1
; LDSByteSize: 12288 bytes/workgroup (compile time only)
; SGPRBlocks: 6
; VGPRBlocks: 5
; NumSGPRsForWavesPerEU: 49
; NumVGPRsForWavesPerEU: 42
; AccumOffset: 44
; Occupancy: 8
; WaveLimiterHint : 1
; COMPUTE_PGM_RSRC2:SCRATCH_EN: 0
; COMPUTE_PGM_RSRC2:USER_SGPR: 6
; COMPUTE_PGM_RSRC2:TRAP_HANDLER: 0
; COMPUTE_PGM_RSRC2:TGID_X_EN: 1
; COMPUTE_PGM_RSRC2:TGID_Y_EN: 1
; COMPUTE_PGM_RSRC2:TGID_Z_EN: 0
; COMPUTE_PGM_RSRC2:TIDIG_COMP_CNT: 0
; COMPUTE_PGM_RSRC3_GFX90A:ACCUM_OFFSET: 10
; COMPUTE_PGM_RSRC3_GFX90A:TG_SPLIT: 0
	.section	.text._ZN9rocsolver6v33100L23larf_right_kernel_smallILi64EfiPKPfEEvT1_S5_T2_lS5_lPKT0_lS6_lS5_l,"axG",@progbits,_ZN9rocsolver6v33100L23larf_right_kernel_smallILi64EfiPKPfEEvT1_S5_T2_lS5_lPKT0_lS6_lS5_l,comdat
	.globl	_ZN9rocsolver6v33100L23larf_right_kernel_smallILi64EfiPKPfEEvT1_S5_T2_lS5_lPKT0_lS6_lS5_l ; -- Begin function _ZN9rocsolver6v33100L23larf_right_kernel_smallILi64EfiPKPfEEvT1_S5_T2_lS5_lPKT0_lS6_lS5_l
	.p2align	8
	.type	_ZN9rocsolver6v33100L23larf_right_kernel_smallILi64EfiPKPfEEvT1_S5_T2_lS5_lPKT0_lS6_lS5_l,@function
_ZN9rocsolver6v33100L23larf_right_kernel_smallILi64EfiPKPfEEvT1_S5_T2_lS5_lPKT0_lS6_lS5_l: ; @_ZN9rocsolver6v33100L23larf_right_kernel_smallILi64EfiPKPfEEvT1_S5_T2_lS5_lPKT0_lS6_lS5_l
; %bb.0:
	s_load_dwordx8 s[12:19], s[4:5], 0x28
	s_load_dwordx2 s[20:21], s[4:5], 0x0
	s_mov_b32 s10, s7
	s_ashr_i32 s7, s6, 31
	s_lshl_b64 s[2:3], s[6:7], 3
	s_waitcnt lgkmcnt(0)
	s_add_u32 s0, s16, s2
	s_addc_u32 s1, s17, s3
	s_load_dwordx2 s[16:17], s[0:1], 0x0
	v_cmp_gt_i32_e64 s[0:1], s21, v0
	s_and_saveexec_b64 s[22:23], s[0:1]
	s_cbranch_execz .LBB15_17
; %bb.1:
	s_load_dwordx4 s[24:27], s[4:5], 0x8
	s_load_dword s28, s[4:5], 0x18
	v_xad_u32 v2, v0, -1, s21
	s_movk_i32 s8, 0x5bf
	v_cmp_lt_u32_e32 vcc, s8, v2
	s_waitcnt lgkmcnt(0)
	s_add_u32 s2, s24, s2
	s_addc_u32 s3, s25, s3
	s_load_dwordx2 s[2:3], s[2:3], 0x0
	s_lshl_b64 s[8:9], s[26:27], 2
                                        ; implicit-def: $vgpr1
                                        ; implicit-def: $sgpr31
	s_waitcnt lgkmcnt(0)
	s_add_u32 s11, s2, s8
	s_addc_u32 s29, s3, s9
	s_sub_i32 s2, 1, s21
	s_mul_i32 s2, s2, s28
	s_cmp_lt_i32 s28, 1
	s_cselect_b32 s30, s2, 0
	s_mov_b64 s[2:3], 0
	s_and_saveexec_b64 s[8:9], vcc
	s_xor_b64 s[24:25], exec, s[8:9]
	s_cbranch_execnz .LBB15_4
; %bb.2:
	s_or_saveexec_b64 s[8:9], s[24:25]
	v_mov_b32_e32 v4, s31
	s_xor_b64 exec, exec, s[8:9]
	s_cbranch_execnz .LBB15_14
.LBB15_3:
	s_or_b64 exec, exec, s[8:9]
	s_and_b64 exec, exec, s[2:3]
	s_cbranch_execnz .LBB15_15
	s_branch .LBB15_17
.LBB15_4:
	s_lshl_b32 s31, s28, 6
	s_sub_i32 s8, 0, s31
	s_cmp_lt_i32 s31, 0
	s_cselect_b64 vcc, -1, 0
	s_and_b64 s[2:3], vcc, exec
	v_lshrrev_b32_e32 v4, 6, v2
	s_cselect_b32 s8, s8, s31
	v_mul_lo_u32 v1, v0, s28
	v_mul_hi_u32 v2, s8, v4
	v_add_u32_e32 v1, s30, v1
	v_cmp_eq_u32_e64 s[2:3], 0, v2
	v_mul_lo_u32 v2, s8, v4
	v_add_u32_e32 v3, v1, v2
	v_sub_u32_e32 v2, v1, v2
	v_cmp_gt_i32_e64 s[8:9], v2, v1
	v_cndmask_b32_e64 v2, 0, 1, s[8:9]
	v_cmp_lt_i32_e64 s[8:9], v3, v1
	v_cndmask_b32_e64 v1, 0, 1, s[8:9]
	v_cndmask_b32_e32 v1, v1, v2, vcc
	v_and_b32_e32 v1, 1, v1
	v_cmp_eq_u32_e32 vcc, 1, v1
	s_xor_b64 s[26:27], vcc, -1
	s_mov_b64 s[8:9], -1
	s_and_b64 s[26:27], s[26:27], s[2:3]
	v_mov_b32_e32 v1, v0
	s_and_saveexec_b64 s[2:3], s[26:27]
	s_cbranch_execz .LBB15_13
; %bb.5:
	v_add_u32_e32 v2, -1, v4
	v_or_b32_e32 v1, 64, v0
	v_lshrrev_b32_e32 v3, 1, v2
	v_add_u32_e32 v5, 1, v3
	v_cmp_lt_u32_e32 vcc, 5, v2
	v_mov_b32_e32 v9, 0
	v_pk_mov_b32 v[2:3], v[0:1], v[0:1] op_sel:[0,1]
	s_and_saveexec_b64 s[8:9], vcc
	s_cbranch_execz .LBB15_9
; %bb.6:
	v_and_b32_e32 v6, -4, v5
	v_lshlrev_b32_e32 v7, 2, v0
	s_mov_b32 s33, 0
	s_mov_b64 s[26:27], 0
	v_mov_b32_e32 v8, s29
	v_pk_mov_b32 v[2:3], v[0:1], v[0:1] op_sel:[0,1]
.LBB15_7:                               ; =>This Inner Loop Header: Depth=1
	v_mul_lo_u32 v9, v2, s28
	v_add_u32_e32 v11, 0x80, v2
	v_add_u32_e32 v10, s30, v9
	v_mul_lo_u32 v1, v3, s28
	v_mul_lo_u32 v9, v11, s28
	v_ashrrev_i32_e32 v11, 31, v10
	v_add_u32_e32 v13, 0x80, v3
	v_add_u32_e32 v12, s30, v1
	v_lshlrev_b64 v[10:11], 2, v[10:11]
	v_add_u32_e32 v14, 0x100, v2
	v_add_u32_e32 v15, 0x100, v3
	v_mul_lo_u32 v1, v13, s28
	v_ashrrev_i32_e32 v13, 31, v12
	v_add_co_u32_e32 v10, vcc, s11, v10
	v_mul_lo_u32 v15, v15, s28
	v_mul_lo_u32 v18, v14, s28
	v_add_u32_e32 v14, s30, v9
	v_lshlrev_b64 v[12:13], 2, v[12:13]
	v_addc_co_u32_e32 v11, vcc, v8, v11, vcc
	v_add_u32_e32 v16, 0x180, v2
	v_add_u32_e32 v17, 0x180, v3
	;; [unrolled: 1-line block ×3, first 2 shown]
	v_ashrrev_i32_e32 v15, 31, v14
	v_add_co_u32_e32 v12, vcc, s11, v12
	v_mul_lo_u32 v17, v17, s28
	v_mul_lo_u32 v19, v16, s28
	v_add_u32_e32 v16, s30, v1
	v_addc_co_u32_e32 v13, vcc, v8, v13, vcc
	v_lshlrev_b64 v[14:15], 2, v[14:15]
	v_add_u32_e32 v24, s30, v17
	v_ashrrev_i32_e32 v17, 31, v16
	v_add_co_u32_e32 v14, vcc, s11, v14
	v_add_u32_e32 v18, s30, v18
	v_lshlrev_b64 v[16:17], 2, v[16:17]
	v_addc_co_u32_e32 v15, vcc, v8, v15, vcc
	v_add_u32_e32 v22, s30, v19
	v_ashrrev_i32_e32 v19, 31, v18
	v_add_co_u32_e32 v16, vcc, s11, v16
	v_lshlrev_b64 v[18:19], 2, v[18:19]
	v_addc_co_u32_e32 v17, vcc, v8, v17, vcc
	v_ashrrev_i32_e32 v21, 31, v20
	v_add_co_u32_e32 v18, vcc, s11, v18
	v_lshlrev_b64 v[20:21], 2, v[20:21]
	v_addc_co_u32_e32 v19, vcc, v8, v19, vcc
	;; [unrolled: 4-line block ×4, first 2 shown]
	v_add_co_u32_e32 v24, vcc, s11, v24
	v_addc_co_u32_e32 v25, vcc, v8, v25, vcc
	global_load_dword v1, v[10:11], off
	global_load_dword v26, v[12:13], off
	;; [unrolled: 1-line block ×8, first 2 shown]
	v_add_u32_e32 v6, -4, v6
	s_add_i32 s33, s33, 8
	v_cmp_eq_u32_e32 vcc, 0, v6
	v_add_u32_e32 v3, 0x200, v3
	v_add_u32_e32 v2, 0x200, v2
	v_mov_b32_e32 v9, s33
	s_or_b64 s[26:27], vcc, s[26:27]
	s_waitcnt vmcnt(6)
	ds_write2st64_b32 v7, v1, v26 offset1:1
	s_waitcnt vmcnt(4)
	ds_write2st64_b32 v7, v27, v28 offset0:2 offset1:3
	s_waitcnt vmcnt(2)
	ds_write2st64_b32 v7, v29, v30 offset0:4 offset1:5
	;; [unrolled: 2-line block ×3, first 2 shown]
	v_add_u32_e32 v7, 0x800, v7
	s_andn2_b64 exec, exec, s[26:27]
	s_cbranch_execnz .LBB15_7
; %bb.8:
	s_or_b64 exec, exec, s[26:27]
.LBB15_9:
	s_or_b64 exec, exec, s[8:9]
	v_and_b32_e32 v1, 3, v5
	v_cmp_ne_u32_e32 vcc, 0, v1
	s_and_saveexec_b64 s[8:9], vcc
	s_cbranch_execz .LBB15_12
; %bb.10:
	v_lshlrev_b32_e32 v5, 2, v0
	v_lshl_or_b32 v5, v9, 8, v5
	s_mov_b64 s[26:27], 0
	v_mov_b32_e32 v6, s29
.LBB15_11:                              ; =>This Inner Loop Header: Depth=1
	v_mul_lo_u32 v8, v2, s28
	v_add_u32_e32 v8, s30, v8
	v_mul_lo_u32 v7, v3, s28
	v_ashrrev_i32_e32 v9, 31, v8
	v_add_u32_e32 v10, s30, v7
	v_lshlrev_b64 v[8:9], 2, v[8:9]
	v_ashrrev_i32_e32 v11, 31, v10
	v_add_co_u32_e32 v8, vcc, s11, v8
	v_lshlrev_b64 v[10:11], 2, v[10:11]
	v_addc_co_u32_e32 v9, vcc, v6, v9, vcc
	v_add_co_u32_e32 v10, vcc, s11, v10
	v_addc_co_u32_e32 v11, vcc, v6, v11, vcc
	global_load_dword v7, v[8:9], off
	global_load_dword v12, v[10:11], off
	v_add_u32_e32 v1, -1, v1
	v_cmp_eq_u32_e32 vcc, 0, v1
	v_add_u32_e32 v3, 0x80, v3
	v_add_u32_e32 v2, 0x80, v2
	s_or_b64 s[26:27], vcc, s[26:27]
	s_waitcnt vmcnt(0)
	ds_write2st64_b32 v5, v7, v12 offset1:1
	v_add_u32_e32 v5, 0x200, v5
	s_andn2_b64 exec, exec, s[26:27]
	s_cbranch_execnz .LBB15_11
.LBB15_12:
	s_or_b64 exec, exec, s[8:9]
	v_add_u32_e32 v2, 1, v4
	v_and_b32_e32 v3, 0x7fffffe, v2
	v_cmp_ne_u32_e32 vcc, v2, v3
	v_lshl_or_b32 v1, v3, 6, v0
	s_orn2_b64 s[8:9], vcc, exec
.LBB15_13:
	s_or_b64 exec, exec, s[2:3]
	s_and_b64 s[2:3], s[8:9], exec
	s_or_saveexec_b64 s[8:9], s[24:25]
	v_mov_b32_e32 v4, s31
	s_xor_b64 exec, exec, s[8:9]
	s_cbranch_execz .LBB15_3
.LBB15_14:
	s_lshl_b32 s24, s28, 6
	v_mov_b32_e32 v4, s24
	s_or_b64 s[2:3], s[2:3], exec
	v_mov_b32_e32 v1, v0
	s_or_b64 exec, exec, s[8:9]
	s_and_b64 exec, exec, s[2:3]
	s_cbranch_execz .LBB15_17
.LBB15_15:
	v_mul_lo_u32 v2, v1, s28
	v_add_u32_e32 v2, s30, v2
	v_lshlrev_b32_e32 v5, 2, v1
	s_mov_b64 s[2:3], 0
	v_mov_b32_e32 v6, s29
.LBB15_16:                              ; =>This Inner Loop Header: Depth=1
	v_ashrrev_i32_e32 v3, 31, v2
	v_lshlrev_b64 v[8:9], 2, v[2:3]
	v_add_co_u32_e32 v8, vcc, s11, v8
	v_addc_co_u32_e32 v9, vcc, v6, v9, vcc
	global_load_dword v3, v[8:9], off
	v_add_u32_e32 v1, 64, v1
	v_cmp_le_i32_e32 vcc, s21, v1
	v_add_u32_e32 v2, v2, v4
	s_or_b64 s[2:3], vcc, s[2:3]
	s_waitcnt vmcnt(0)
	ds_write_b32 v5, v3
	v_add_u32_e32 v5, 0x100, v5
	s_andn2_b64 exec, exec, s[2:3]
	s_cbranch_execnz .LBB15_16
.LBB15_17:
	s_or_b64 exec, exec, s[22:23]
	s_cmp_ge_i32 s10, s20
	s_waitcnt lgkmcnt(0)
	; wave barrier
	s_waitcnt lgkmcnt(0)
	s_cbranch_scc1 .LBB15_35
; %bb.18:
	s_lshl_b64 s[2:3], s[18:19], 2
	s_add_u32 s16, s16, s2
	s_addc_u32 s17, s17, s3
	s_mul_i32 s2, s6, s15
	s_mul_hi_u32 s3, s6, s14
	s_add_i32 s2, s3, s2
	s_mul_i32 s3, s7, s14
	s_load_dword s8, s[4:5], 0x48
	s_add_i32 s3, s2, s3
	s_mul_i32 s2, s6, s14
	s_lshl_b64 s[2:3], s[2:3], 2
	s_add_u32 s2, s12, s2
	s_addc_u32 s3, s13, s3
	v_mbcnt_lo_u32_b32 v2, -1, 0
	s_cmp_gt_i32 s21, 1
	v_mbcnt_hi_u32_b32 v7, -1, v2
	s_cselect_b64 s[4:5], -1, 0
	v_cmp_eq_u32_e64 s[6:7], 0, v0
	v_lshrrev_b32_e32 v1, 4, v0
	v_lshlrev_b32_e32 v4, 2, v0
	s_waitcnt lgkmcnt(0)
	v_mul_lo_u32 v5, v0, s8
	s_lshl_b32 s14, s8, 6
	v_mov_b32_e32 v6, 0
	v_and_b32_e32 v8, 63, v7
	s_branch .LBB15_20
.LBB15_19:                              ;   in Loop: Header=BB15_20 Depth=1
	s_or_b64 exec, exec, s[8:9]
	s_add_i32 s10, s10, 64
	s_cmp_ge_i32 s10, s20
	s_cbranch_scc1 .LBB15_35
.LBB15_20:                              ; =>This Loop Header: Depth=1
                                        ;     Child Loop BB15_22 Depth 2
                                        ;     Child Loop BB15_34 Depth 2
	s_ashr_i32 s11, s10, 31
	s_lshl_b64 s[8:9], s[10:11], 2
	s_add_u32 s11, s16, s8
	s_addc_u32 s15, s17, s9
	v_mov_b32_e32 v9, 0
	s_and_saveexec_b64 s[8:9], s[0:1]
	s_cbranch_execz .LBB15_24
; %bb.21:                               ;   in Loop: Header=BB15_20 Depth=1
	s_mov_b64 s[12:13], 0
	v_mov_b32_e32 v9, 0
	v_mov_b32_e32 v10, s15
	;; [unrolled: 1-line block ×5, first 2 shown]
.LBB15_22:                              ;   Parent Loop BB15_20 Depth=1
                                        ; =>  This Inner Loop Header: Depth=2
	v_ashrrev_i32_e32 v3, 31, v2
	v_lshlrev_b64 v[14:15], 2, v[2:3]
	v_add_co_u32_e32 v14, vcc, s11, v14
	v_addc_co_u32_e32 v15, vcc, v10, v15, vcc
	global_load_dword v3, v[14:15], off
	ds_read_b32 v13, v11
	v_add_u32_e32 v12, 64, v12
	v_cmp_le_i32_e32 vcc, s21, v12
	v_add_u32_e32 v11, 0x100, v11
	v_add_u32_e32 v2, s14, v2
	s_or_b64 s[12:13], vcc, s[12:13]
	s_waitcnt vmcnt(0) lgkmcnt(0)
	v_mul_f32_e32 v3, v13, v3
	v_add_f32_e32 v9, v9, v3
	s_andn2_b64 exec, exec, s[12:13]
	s_cbranch_execnz .LBB15_22
; %bb.23:                               ;   in Loop: Header=BB15_20 Depth=1
	s_or_b64 exec, exec, s[12:13]
.LBB15_24:                              ;   in Loop: Header=BB15_20 Depth=1
	s_or_b64 exec, exec, s[8:9]
	s_and_b64 vcc, exec, s[4:5]
	s_cbranch_vccz .LBB15_29
; %bb.25:                               ;   in Loop: Header=BB15_20 Depth=1
	v_cmp_ne_u32_e32 vcc, 63, v8
	v_addc_co_u32_e32 v2, vcc, 0, v7, vcc
	v_lshlrev_b32_e32 v2, 2, v2
	ds_bpermute_b32 v2, v2, v9
	v_cmp_gt_u32_e32 vcc, 62, v8
	v_cndmask_b32_e64 v3, 0, 1, vcc
	v_lshlrev_b32_e32 v3, 1, v3
	v_add_lshl_u32 v3, v3, v7, 2
	s_waitcnt lgkmcnt(0)
	v_add_f32_e32 v2, v9, v2
	ds_bpermute_b32 v3, v3, v2
	v_cmp_gt_u32_e32 vcc, 60, v8
	v_cndmask_b32_e64 v10, 0, 1, vcc
	v_cmp_gt_u32_e32 vcc, 56, v8
	s_waitcnt lgkmcnt(0)
	v_add_f32_e32 v2, v2, v3
	v_lshlrev_b32_e32 v3, 2, v10
	v_add_lshl_u32 v3, v3, v7, 2
	ds_bpermute_b32 v3, v3, v2
	v_cndmask_b32_e64 v10, 0, 1, vcc
	v_cmp_gt_u32_e32 vcc, 48, v8
	s_waitcnt lgkmcnt(0)
	v_add_f32_e32 v2, v2, v3
	v_lshlrev_b32_e32 v3, 3, v10
	v_add_lshl_u32 v3, v3, v7, 2
	ds_bpermute_b32 v3, v3, v2
	;; [unrolled: 7-line block ×3, first 2 shown]
	v_cndmask_b32_e64 v10, 0, 1, vcc
	s_waitcnt lgkmcnt(0)
	v_add_f32_e32 v2, v2, v3
	v_lshlrev_b32_e32 v3, 5, v10
	v_add_lshl_u32 v3, v3, v7, 2
	ds_bpermute_b32 v3, v3, v2
	s_waitcnt lgkmcnt(0)
	v_add_f32_e32 v2, v2, v3
	s_and_saveexec_b64 s[8:9], s[6:7]
	s_cbranch_execz .LBB15_27
; %bb.26:                               ;   in Loop: Header=BB15_20 Depth=1
	ds_write_b32 v1, v2 offset:8192
.LBB15_27:                              ;   in Loop: Header=BB15_20 Depth=1
	s_or_b64 exec, exec, s[8:9]
	s_waitcnt lgkmcnt(0)
	; wave barrier
	s_waitcnt lgkmcnt(0)
	s_mov_b64 s[8:9], s[6:7]
.LBB15_28:                              ;   in Loop: Header=BB15_20 Depth=1
	v_mov_b32_e32 v9, v2
	s_and_saveexec_b64 s[12:13], s[8:9]
	s_cbranch_execnz .LBB15_31
	s_branch .LBB15_32
.LBB15_29:                              ;   in Loop: Header=BB15_20 Depth=1
	s_mov_b64 s[8:9], 0
                                        ; implicit-def: $vgpr2
	s_cbranch_execz .LBB15_28
; %bb.30:                               ;   in Loop: Header=BB15_20 Depth=1
	s_andn2_b64 s[8:9], s[8:9], exec
	s_and_b64 s[12:13], s[6:7], exec
	s_or_b64 s[8:9], s[8:9], s[12:13]
	s_and_saveexec_b64 s[12:13], s[8:9]
	s_cbranch_execz .LBB15_32
.LBB15_31:                              ;   in Loop: Header=BB15_20 Depth=1
	ds_write_b32 v6, v9 offset:8192
.LBB15_32:                              ;   in Loop: Header=BB15_20 Depth=1
	s_or_b64 exec, exec, s[12:13]
	s_waitcnt lgkmcnt(0)
	; wave barrier
	s_waitcnt lgkmcnt(0)
	s_and_saveexec_b64 s[8:9], s[0:1]
	s_cbranch_execz .LBB15_19
; %bb.33:                               ;   in Loop: Header=BB15_20 Depth=1
	global_load_dword v3, v6, s[2:3]
	ds_read_b32 v11, v6 offset:8192
	s_mov_b64 s[12:13], 0
	v_mov_b32_e32 v9, s15
	v_mov_b32_e32 v10, v4
	;; [unrolled: 1-line block ×4, first 2 shown]
	s_waitcnt vmcnt(0) lgkmcnt(0)
	v_mul_f32_e64 v11, v11, -v3
.LBB15_34:                              ;   Parent Loop BB15_20 Depth=1
                                        ; =>  This Inner Loop Header: Depth=2
	v_ashrrev_i32_e32 v3, 31, v2
	v_lshlrev_b64 v[14:15], 2, v[2:3]
	v_add_co_u32_e32 v14, vcc, s11, v14
	v_addc_co_u32_e32 v15, vcc, v9, v15, vcc
	global_load_dword v3, v[14:15], off
	ds_read_b32 v13, v10
	v_add_u32_e32 v12, 64, v12
	v_cmp_le_i32_e32 vcc, s21, v12
	v_add_u32_e32 v10, 0x100, v10
	v_add_u32_e32 v2, s14, v2
	s_or_b64 s[12:13], vcc, s[12:13]
	s_waitcnt vmcnt(0) lgkmcnt(0)
	v_fmac_f32_e32 v3, v11, v13
	global_store_dword v[14:15], v3, off
	s_andn2_b64 exec, exec, s[12:13]
	s_cbranch_execnz .LBB15_34
	s_branch .LBB15_19
.LBB15_35:
	s_endpgm
	.section	.rodata,"a",@progbits
	.p2align	6, 0x0
	.amdhsa_kernel _ZN9rocsolver6v33100L23larf_right_kernel_smallILi64EfiPKPfEEvT1_S5_T2_lS5_lPKT0_lS6_lS5_l
		.amdhsa_group_segment_fixed_size 8196
		.amdhsa_private_segment_fixed_size 0
		.amdhsa_kernarg_size 88
		.amdhsa_user_sgpr_count 6
		.amdhsa_user_sgpr_private_segment_buffer 1
		.amdhsa_user_sgpr_dispatch_ptr 0
		.amdhsa_user_sgpr_queue_ptr 0
		.amdhsa_user_sgpr_kernarg_segment_ptr 1
		.amdhsa_user_sgpr_dispatch_id 0
		.amdhsa_user_sgpr_flat_scratch_init 0
		.amdhsa_user_sgpr_kernarg_preload_length 0
		.amdhsa_user_sgpr_kernarg_preload_offset 0
		.amdhsa_user_sgpr_private_segment_size 0
		.amdhsa_uses_dynamic_stack 0
		.amdhsa_system_sgpr_private_segment_wavefront_offset 0
		.amdhsa_system_sgpr_workgroup_id_x 1
		.amdhsa_system_sgpr_workgroup_id_y 1
		.amdhsa_system_sgpr_workgroup_id_z 0
		.amdhsa_system_sgpr_workgroup_info 0
		.amdhsa_system_vgpr_workitem_id 0
		.amdhsa_next_free_vgpr 33
		.amdhsa_next_free_sgpr 34
		.amdhsa_accum_offset 36
		.amdhsa_reserve_vcc 1
		.amdhsa_reserve_flat_scratch 0
		.amdhsa_float_round_mode_32 0
		.amdhsa_float_round_mode_16_64 0
		.amdhsa_float_denorm_mode_32 3
		.amdhsa_float_denorm_mode_16_64 3
		.amdhsa_dx10_clamp 1
		.amdhsa_ieee_mode 1
		.amdhsa_fp16_overflow 0
		.amdhsa_tg_split 0
		.amdhsa_exception_fp_ieee_invalid_op 0
		.amdhsa_exception_fp_denorm_src 0
		.amdhsa_exception_fp_ieee_div_zero 0
		.amdhsa_exception_fp_ieee_overflow 0
		.amdhsa_exception_fp_ieee_underflow 0
		.amdhsa_exception_fp_ieee_inexact 0
		.amdhsa_exception_int_div_zero 0
	.end_amdhsa_kernel
	.section	.text._ZN9rocsolver6v33100L23larf_right_kernel_smallILi64EfiPKPfEEvT1_S5_T2_lS5_lPKT0_lS6_lS5_l,"axG",@progbits,_ZN9rocsolver6v33100L23larf_right_kernel_smallILi64EfiPKPfEEvT1_S5_T2_lS5_lPKT0_lS6_lS5_l,comdat
.Lfunc_end15:
	.size	_ZN9rocsolver6v33100L23larf_right_kernel_smallILi64EfiPKPfEEvT1_S5_T2_lS5_lPKT0_lS6_lS5_l, .Lfunc_end15-_ZN9rocsolver6v33100L23larf_right_kernel_smallILi64EfiPKPfEEvT1_S5_T2_lS5_lPKT0_lS6_lS5_l
                                        ; -- End function
	.section	.AMDGPU.csdata,"",@progbits
; Kernel info:
; codeLenInByte = 2012
; NumSgprs: 38
; NumVgprs: 33
; NumAgprs: 0
; TotalNumVgprs: 33
; ScratchSize: 0
; MemoryBound: 0
; FloatMode: 240
; IeeeMode: 1
; LDSByteSize: 8196 bytes/workgroup (compile time only)
; SGPRBlocks: 4
; VGPRBlocks: 4
; NumSGPRsForWavesPerEU: 38
; NumVGPRsForWavesPerEU: 33
; AccumOffset: 36
; Occupancy: 2
; WaveLimiterHint : 1
; COMPUTE_PGM_RSRC2:SCRATCH_EN: 0
; COMPUTE_PGM_RSRC2:USER_SGPR: 6
; COMPUTE_PGM_RSRC2:TRAP_HANDLER: 0
; COMPUTE_PGM_RSRC2:TGID_X_EN: 1
; COMPUTE_PGM_RSRC2:TGID_Y_EN: 1
; COMPUTE_PGM_RSRC2:TGID_Z_EN: 0
; COMPUTE_PGM_RSRC2:TIDIG_COMP_CNT: 0
; COMPUTE_PGM_RSRC3_GFX90A:ACCUM_OFFSET: 8
; COMPUTE_PGM_RSRC3_GFX90A:TG_SPLIT: 0
	.section	.text._ZN9rocsolver6v33100L23larf_right_kernel_smallILi128EfiPKPfEEvT1_S5_T2_lS5_lPKT0_lS6_lS5_l,"axG",@progbits,_ZN9rocsolver6v33100L23larf_right_kernel_smallILi128EfiPKPfEEvT1_S5_T2_lS5_lPKT0_lS6_lS5_l,comdat
	.globl	_ZN9rocsolver6v33100L23larf_right_kernel_smallILi128EfiPKPfEEvT1_S5_T2_lS5_lPKT0_lS6_lS5_l ; -- Begin function _ZN9rocsolver6v33100L23larf_right_kernel_smallILi128EfiPKPfEEvT1_S5_T2_lS5_lPKT0_lS6_lS5_l
	.p2align	8
	.type	_ZN9rocsolver6v33100L23larf_right_kernel_smallILi128EfiPKPfEEvT1_S5_T2_lS5_lPKT0_lS6_lS5_l,@function
_ZN9rocsolver6v33100L23larf_right_kernel_smallILi128EfiPKPfEEvT1_S5_T2_lS5_lPKT0_lS6_lS5_l: ; @_ZN9rocsolver6v33100L23larf_right_kernel_smallILi128EfiPKPfEEvT1_S5_T2_lS5_lPKT0_lS6_lS5_l
; %bb.0:
	s_load_dwordx8 s[12:19], s[4:5], 0x28
	s_load_dwordx2 s[20:21], s[4:5], 0x0
	s_mov_b32 s10, s7
	s_ashr_i32 s7, s6, 31
	s_lshl_b64 s[2:3], s[6:7], 3
	s_waitcnt lgkmcnt(0)
	s_add_u32 s0, s16, s2
	s_addc_u32 s1, s17, s3
	s_load_dwordx2 s[16:17], s[0:1], 0x0
	v_cmp_gt_i32_e64 s[0:1], s21, v0
	s_and_saveexec_b64 s[22:23], s[0:1]
	s_cbranch_execz .LBB16_17
; %bb.1:
	s_load_dwordx4 s[24:27], s[4:5], 0x8
	s_load_dword s28, s[4:5], 0x18
	v_xad_u32 v2, v0, -1, s21
	s_movk_i32 s8, 0xb7f
	v_cmp_lt_u32_e32 vcc, s8, v2
	s_waitcnt lgkmcnt(0)
	s_add_u32 s2, s24, s2
	s_addc_u32 s3, s25, s3
	s_load_dwordx2 s[2:3], s[2:3], 0x0
	s_lshl_b64 s[8:9], s[26:27], 2
                                        ; implicit-def: $vgpr1
                                        ; implicit-def: $sgpr31
	s_waitcnt lgkmcnt(0)
	s_add_u32 s11, s2, s8
	s_addc_u32 s29, s3, s9
	s_sub_i32 s2, 1, s21
	s_mul_i32 s2, s2, s28
	s_cmp_lt_i32 s28, 1
	s_cselect_b32 s30, s2, 0
	s_mov_b64 s[2:3], 0
	s_and_saveexec_b64 s[8:9], vcc
	s_xor_b64 s[24:25], exec, s[8:9]
	s_cbranch_execnz .LBB16_4
; %bb.2:
	s_or_saveexec_b64 s[8:9], s[24:25]
	v_mov_b32_e32 v4, s31
	s_xor_b64 exec, exec, s[8:9]
	s_cbranch_execnz .LBB16_14
.LBB16_3:
	s_or_b64 exec, exec, s[8:9]
	s_and_b64 exec, exec, s[2:3]
	s_cbranch_execnz .LBB16_15
	s_branch .LBB16_17
.LBB16_4:
	s_lshl_b32 s31, s28, 7
	s_sub_i32 s8, 0, s31
	s_cmp_lt_i32 s31, 0
	s_cselect_b64 vcc, -1, 0
	s_and_b64 s[2:3], vcc, exec
	v_lshrrev_b32_e32 v4, 7, v2
	s_cselect_b32 s8, s8, s31
	v_mul_lo_u32 v1, v0, s28
	v_mul_hi_u32 v2, s8, v4
	v_add_u32_e32 v1, s30, v1
	v_cmp_eq_u32_e64 s[2:3], 0, v2
	v_mul_lo_u32 v2, s8, v4
	v_add_u32_e32 v3, v1, v2
	v_sub_u32_e32 v2, v1, v2
	v_cmp_gt_i32_e64 s[8:9], v2, v1
	v_cndmask_b32_e64 v2, 0, 1, s[8:9]
	v_cmp_lt_i32_e64 s[8:9], v3, v1
	v_cndmask_b32_e64 v1, 0, 1, s[8:9]
	v_cndmask_b32_e32 v1, v1, v2, vcc
	v_and_b32_e32 v1, 1, v1
	v_cmp_eq_u32_e32 vcc, 1, v1
	s_xor_b64 s[26:27], vcc, -1
	s_mov_b64 s[8:9], -1
	s_and_b64 s[26:27], s[26:27], s[2:3]
	v_mov_b32_e32 v1, v0
	s_and_saveexec_b64 s[2:3], s[26:27]
	s_cbranch_execz .LBB16_13
; %bb.5:
	v_add_u32_e32 v2, -1, v4
	v_or_b32_e32 v1, 0x80, v0
	v_lshrrev_b32_e32 v3, 1, v2
	v_add_u32_e32 v5, 1, v3
	v_cmp_lt_u32_e32 vcc, 5, v2
	v_mov_b32_e32 v9, 0
	v_pk_mov_b32 v[2:3], v[0:1], v[0:1] op_sel:[0,1]
	s_and_saveexec_b64 s[8:9], vcc
	s_cbranch_execz .LBB16_9
; %bb.6:
	v_and_b32_e32 v6, -4, v5
	v_lshlrev_b32_e32 v7, 2, v0
	s_mov_b32 s33, 0
	s_mov_b64 s[26:27], 0
	v_mov_b32_e32 v8, s29
	v_pk_mov_b32 v[2:3], v[0:1], v[0:1] op_sel:[0,1]
.LBB16_7:                               ; =>This Inner Loop Header: Depth=1
	v_mul_lo_u32 v9, v2, s28
	v_add_u32_e32 v11, 0x100, v2
	v_add_u32_e32 v10, s30, v9
	v_mul_lo_u32 v1, v3, s28
	v_mul_lo_u32 v9, v11, s28
	v_ashrrev_i32_e32 v11, 31, v10
	v_add_u32_e32 v13, 0x100, v3
	v_add_u32_e32 v12, s30, v1
	v_lshlrev_b64 v[10:11], 2, v[10:11]
	v_add_u32_e32 v14, 0x200, v2
	v_add_u32_e32 v15, 0x200, v3
	v_mul_lo_u32 v1, v13, s28
	v_ashrrev_i32_e32 v13, 31, v12
	v_add_co_u32_e32 v10, vcc, s11, v10
	v_mul_lo_u32 v15, v15, s28
	v_mul_lo_u32 v18, v14, s28
	v_add_u32_e32 v14, s30, v9
	v_lshlrev_b64 v[12:13], 2, v[12:13]
	v_addc_co_u32_e32 v11, vcc, v8, v11, vcc
	v_add_u32_e32 v16, 0x300, v2
	v_add_u32_e32 v17, 0x300, v3
	;; [unrolled: 1-line block ×3, first 2 shown]
	v_ashrrev_i32_e32 v15, 31, v14
	v_add_co_u32_e32 v12, vcc, s11, v12
	v_mul_lo_u32 v17, v17, s28
	v_mul_lo_u32 v19, v16, s28
	v_add_u32_e32 v16, s30, v1
	v_addc_co_u32_e32 v13, vcc, v8, v13, vcc
	v_lshlrev_b64 v[14:15], 2, v[14:15]
	v_add_u32_e32 v24, s30, v17
	v_ashrrev_i32_e32 v17, 31, v16
	v_add_co_u32_e32 v14, vcc, s11, v14
	v_add_u32_e32 v18, s30, v18
	v_lshlrev_b64 v[16:17], 2, v[16:17]
	v_addc_co_u32_e32 v15, vcc, v8, v15, vcc
	v_add_u32_e32 v22, s30, v19
	v_ashrrev_i32_e32 v19, 31, v18
	v_add_co_u32_e32 v16, vcc, s11, v16
	v_lshlrev_b64 v[18:19], 2, v[18:19]
	v_addc_co_u32_e32 v17, vcc, v8, v17, vcc
	v_ashrrev_i32_e32 v21, 31, v20
	v_add_co_u32_e32 v18, vcc, s11, v18
	v_lshlrev_b64 v[20:21], 2, v[20:21]
	v_addc_co_u32_e32 v19, vcc, v8, v19, vcc
	;; [unrolled: 4-line block ×4, first 2 shown]
	v_add_co_u32_e32 v24, vcc, s11, v24
	v_addc_co_u32_e32 v25, vcc, v8, v25, vcc
	global_load_dword v1, v[10:11], off
	global_load_dword v26, v[12:13], off
	;; [unrolled: 1-line block ×8, first 2 shown]
	v_add_u32_e32 v6, -4, v6
	s_add_i32 s33, s33, 8
	v_cmp_eq_u32_e32 vcc, 0, v6
	v_add_u32_e32 v3, 0x400, v3
	v_add_u32_e32 v2, 0x400, v2
	v_mov_b32_e32 v9, s33
	s_or_b64 s[26:27], vcc, s[26:27]
	s_waitcnt vmcnt(6)
	ds_write2st64_b32 v7, v1, v26 offset1:2
	s_waitcnt vmcnt(4)
	ds_write2st64_b32 v7, v27, v28 offset0:4 offset1:6
	s_waitcnt vmcnt(2)
	ds_write2st64_b32 v7, v29, v30 offset0:8 offset1:10
	;; [unrolled: 2-line block ×3, first 2 shown]
	v_add_u32_e32 v7, 0x1000, v7
	s_andn2_b64 exec, exec, s[26:27]
	s_cbranch_execnz .LBB16_7
; %bb.8:
	s_or_b64 exec, exec, s[26:27]
.LBB16_9:
	s_or_b64 exec, exec, s[8:9]
	v_and_b32_e32 v1, 3, v5
	v_cmp_ne_u32_e32 vcc, 0, v1
	s_and_saveexec_b64 s[8:9], vcc
	s_cbranch_execz .LBB16_12
; %bb.10:
	v_lshlrev_b32_e32 v5, 2, v0
	v_lshl_or_b32 v5, v9, 9, v5
	s_mov_b64 s[26:27], 0
	v_mov_b32_e32 v6, s29
.LBB16_11:                              ; =>This Inner Loop Header: Depth=1
	v_mul_lo_u32 v8, v2, s28
	v_add_u32_e32 v8, s30, v8
	v_mul_lo_u32 v7, v3, s28
	v_ashrrev_i32_e32 v9, 31, v8
	v_add_u32_e32 v10, s30, v7
	v_lshlrev_b64 v[8:9], 2, v[8:9]
	v_ashrrev_i32_e32 v11, 31, v10
	v_add_co_u32_e32 v8, vcc, s11, v8
	v_lshlrev_b64 v[10:11], 2, v[10:11]
	v_addc_co_u32_e32 v9, vcc, v6, v9, vcc
	v_add_co_u32_e32 v10, vcc, s11, v10
	v_addc_co_u32_e32 v11, vcc, v6, v11, vcc
	global_load_dword v7, v[8:9], off
	global_load_dword v12, v[10:11], off
	v_add_u32_e32 v1, -1, v1
	v_cmp_eq_u32_e32 vcc, 0, v1
	v_add_u32_e32 v3, 0x100, v3
	v_add_u32_e32 v2, 0x100, v2
	s_or_b64 s[26:27], vcc, s[26:27]
	s_waitcnt vmcnt(0)
	ds_write2st64_b32 v5, v7, v12 offset1:2
	v_add_u32_e32 v5, 0x400, v5
	s_andn2_b64 exec, exec, s[26:27]
	s_cbranch_execnz .LBB16_11
.LBB16_12:
	s_or_b64 exec, exec, s[8:9]
	v_add_u32_e32 v2, 1, v4
	v_and_b32_e32 v3, 0x3fffffe, v2
	v_cmp_ne_u32_e32 vcc, v2, v3
	v_lshl_or_b32 v1, v3, 7, v0
	s_orn2_b64 s[8:9], vcc, exec
.LBB16_13:
	s_or_b64 exec, exec, s[2:3]
	s_and_b64 s[2:3], s[8:9], exec
	s_or_saveexec_b64 s[8:9], s[24:25]
	v_mov_b32_e32 v4, s31
	s_xor_b64 exec, exec, s[8:9]
	s_cbranch_execz .LBB16_3
.LBB16_14:
	s_lshl_b32 s24, s28, 7
	v_mov_b32_e32 v4, s24
	s_or_b64 s[2:3], s[2:3], exec
	v_mov_b32_e32 v1, v0
	s_or_b64 exec, exec, s[8:9]
	s_and_b64 exec, exec, s[2:3]
	s_cbranch_execz .LBB16_17
.LBB16_15:
	v_mul_lo_u32 v2, v1, s28
	v_add_u32_e32 v2, s30, v2
	v_lshlrev_b32_e32 v5, 2, v1
	s_mov_b64 s[2:3], 0
	v_mov_b32_e32 v6, s29
.LBB16_16:                              ; =>This Inner Loop Header: Depth=1
	v_ashrrev_i32_e32 v3, 31, v2
	v_lshlrev_b64 v[8:9], 2, v[2:3]
	v_add_co_u32_e32 v8, vcc, s11, v8
	v_addc_co_u32_e32 v9, vcc, v6, v9, vcc
	global_load_dword v3, v[8:9], off
	v_add_u32_e32 v1, 0x80, v1
	v_cmp_le_i32_e32 vcc, s21, v1
	v_add_u32_e32 v2, v2, v4
	s_or_b64 s[2:3], vcc, s[2:3]
	s_waitcnt vmcnt(0)
	ds_write_b32 v5, v3
	v_add_u32_e32 v5, 0x200, v5
	s_andn2_b64 exec, exec, s[2:3]
	s_cbranch_execnz .LBB16_16
.LBB16_17:
	s_or_b64 exec, exec, s[22:23]
	s_cmp_ge_i32 s10, s20
	s_waitcnt lgkmcnt(0)
	s_barrier
	s_cbranch_scc1 .LBB16_37
; %bb.18:
	s_lshl_b64 s[2:3], s[18:19], 2
	s_add_u32 s18, s16, s2
	s_addc_u32 s19, s17, s3
	s_mul_i32 s2, s6, s15
	s_mul_hi_u32 s3, s6, s14
	s_add_i32 s2, s3, s2
	s_mul_i32 s3, s7, s14
	s_load_dword s11, s[4:5], 0x48
	s_add_i32 s3, s2, s3
	s_mul_i32 s2, s6, s14
	s_lshl_b64 s[2:3], s[2:3], 2
	s_add_u32 s6, s12, s2
	s_addc_u32 s7, s13, s3
	v_mbcnt_lo_u32_b32 v2, -1, 0
	s_cmp_gt_i32 s21, 1
	v_and_b32_e32 v1, 63, v0
	v_mbcnt_hi_u32_b32 v7, -1, v2
	s_cselect_b64 s[8:9], -1, 0
	v_cmp_eq_u32_e64 s[2:3], 0, v1
	v_lshrrev_b32_e32 v1, 4, v0
	v_cmp_eq_u32_e64 s[4:5], 0, v0
	v_lshlrev_b32_e32 v4, 2, v0
	s_waitcnt lgkmcnt(0)
	v_mul_lo_u32 v5, v0, s11
	s_lshl_b32 s22, s11, 7
	v_mov_b32_e32 v6, 0
	v_and_b32_e32 v8, 63, v7
	s_branch .LBB16_20
.LBB16_19:                              ;   in Loop: Header=BB16_20 Depth=1
	s_or_b64 exec, exec, s[12:13]
	s_add_i32 s10, s10, 64
	s_cmp_ge_i32 s10, s20
	s_cbranch_scc1 .LBB16_37
.LBB16_20:                              ; =>This Loop Header: Depth=1
                                        ;     Child Loop BB16_22 Depth 2
                                        ;     Child Loop BB16_36 Depth 2
	s_ashr_i32 s11, s10, 31
	s_lshl_b64 s[12:13], s[10:11], 2
	s_add_u32 s11, s18, s12
	s_addc_u32 s23, s19, s13
	v_mov_b32_e32 v9, 0
	s_and_saveexec_b64 s[12:13], s[0:1]
	s_cbranch_execz .LBB16_24
; %bb.21:                               ;   in Loop: Header=BB16_20 Depth=1
	s_mov_b64 s[14:15], 0
	v_mov_b32_e32 v9, 0
	v_mov_b32_e32 v10, s23
	;; [unrolled: 1-line block ×5, first 2 shown]
.LBB16_22:                              ;   Parent Loop BB16_20 Depth=1
                                        ; =>  This Inner Loop Header: Depth=2
	v_ashrrev_i32_e32 v3, 31, v2
	v_lshlrev_b64 v[14:15], 2, v[2:3]
	v_add_co_u32_e32 v14, vcc, s11, v14
	v_addc_co_u32_e32 v15, vcc, v10, v15, vcc
	global_load_dword v3, v[14:15], off
	ds_read_b32 v13, v11
	v_add_u32_e32 v12, 0x80, v12
	v_cmp_le_i32_e32 vcc, s21, v12
	v_add_u32_e32 v11, 0x200, v11
	v_add_u32_e32 v2, s22, v2
	s_or_b64 s[14:15], vcc, s[14:15]
	s_waitcnt vmcnt(0) lgkmcnt(0)
	v_mul_f32_e32 v3, v13, v3
	v_add_f32_e32 v9, v9, v3
	s_andn2_b64 exec, exec, s[14:15]
	s_cbranch_execnz .LBB16_22
; %bb.23:                               ;   in Loop: Header=BB16_20 Depth=1
	s_or_b64 exec, exec, s[14:15]
.LBB16_24:                              ;   in Loop: Header=BB16_20 Depth=1
	s_or_b64 exec, exec, s[12:13]
	s_and_b64 vcc, exec, s[8:9]
	s_cbranch_vccz .LBB16_31
; %bb.25:                               ;   in Loop: Header=BB16_20 Depth=1
	v_cmp_ne_u32_e32 vcc, 63, v8
	v_addc_co_u32_e32 v2, vcc, 0, v7, vcc
	v_lshlrev_b32_e32 v2, 2, v2
	ds_bpermute_b32 v2, v2, v9
	v_cmp_gt_u32_e32 vcc, 62, v8
	v_cndmask_b32_e64 v3, 0, 1, vcc
	v_lshlrev_b32_e32 v3, 1, v3
	v_add_lshl_u32 v3, v3, v7, 2
	s_waitcnt lgkmcnt(0)
	v_add_f32_e32 v2, v9, v2
	ds_bpermute_b32 v3, v3, v2
	v_cmp_gt_u32_e32 vcc, 60, v8
	v_cndmask_b32_e64 v10, 0, 1, vcc
	v_cmp_gt_u32_e32 vcc, 56, v8
	s_waitcnt lgkmcnt(0)
	v_add_f32_e32 v2, v2, v3
	v_lshlrev_b32_e32 v3, 2, v10
	v_add_lshl_u32 v3, v3, v7, 2
	ds_bpermute_b32 v3, v3, v2
	v_cndmask_b32_e64 v10, 0, 1, vcc
	v_cmp_gt_u32_e32 vcc, 48, v8
	s_waitcnt lgkmcnt(0)
	v_add_f32_e32 v2, v2, v3
	v_lshlrev_b32_e32 v3, 3, v10
	v_add_lshl_u32 v3, v3, v7, 2
	ds_bpermute_b32 v3, v3, v2
	;; [unrolled: 7-line block ×3, first 2 shown]
	v_cndmask_b32_e64 v10, 0, 1, vcc
	s_waitcnt lgkmcnt(0)
	v_add_f32_e32 v2, v2, v3
	v_lshlrev_b32_e32 v3, 5, v10
	v_add_lshl_u32 v3, v3, v7, 2
	ds_bpermute_b32 v3, v3, v2
	s_waitcnt lgkmcnt(0)
	v_add_f32_e32 v3, v2, v3
	s_and_saveexec_b64 s[12:13], s[2:3]
	s_cbranch_execz .LBB16_27
; %bb.26:                               ;   in Loop: Header=BB16_20 Depth=1
	ds_write_b32 v1, v3 offset:8192
.LBB16_27:                              ;   in Loop: Header=BB16_20 Depth=1
	s_or_b64 exec, exec, s[12:13]
	s_mov_b64 s[14:15], 0
	s_mov_b64 s[12:13], 0
	s_waitcnt lgkmcnt(0)
	s_barrier
	s_waitcnt lgkmcnt(0)
                                        ; implicit-def: $vgpr2
	s_and_saveexec_b64 s[16:17], s[4:5]
	s_xor_b64 s[16:17], exec, s[16:17]
	s_cbranch_execz .LBB16_29
; %bb.28:                               ;   in Loop: Header=BB16_20 Depth=1
	ds_read_b32 v2, v6 offset:8196
	s_mov_b64 s[12:13], exec
	s_waitcnt lgkmcnt(0)
	v_add_f32_e32 v2, v3, v2
.LBB16_29:                              ;   in Loop: Header=BB16_20 Depth=1
	s_or_b64 exec, exec, s[16:17]
	s_and_b64 vcc, exec, s[14:15]
	s_cbranch_vccnz .LBB16_32
.LBB16_30:                              ;   in Loop: Header=BB16_20 Depth=1
	v_mov_b32_e32 v9, v2
	s_and_saveexec_b64 s[14:15], s[12:13]
	s_cbranch_execnz .LBB16_33
	s_branch .LBB16_34
.LBB16_31:                              ;   in Loop: Header=BB16_20 Depth=1
	s_mov_b64 s[12:13], 0
                                        ; implicit-def: $vgpr2
	s_cbranch_execz .LBB16_30
.LBB16_32:                              ;   in Loop: Header=BB16_20 Depth=1
	s_andn2_b64 s[12:13], s[12:13], exec
	s_and_b64 s[14:15], s[4:5], exec
	s_or_b64 s[12:13], s[12:13], s[14:15]
	s_and_saveexec_b64 s[14:15], s[12:13]
	s_cbranch_execz .LBB16_34
.LBB16_33:                              ;   in Loop: Header=BB16_20 Depth=1
	ds_write_b32 v6, v9 offset:8192
.LBB16_34:                              ;   in Loop: Header=BB16_20 Depth=1
	s_or_b64 exec, exec, s[14:15]
	s_waitcnt lgkmcnt(0)
	s_barrier
	s_and_saveexec_b64 s[12:13], s[0:1]
	s_cbranch_execz .LBB16_19
; %bb.35:                               ;   in Loop: Header=BB16_20 Depth=1
	global_load_dword v3, v6, s[6:7]
	ds_read_b32 v11, v6 offset:8192
	s_mov_b64 s[14:15], 0
	v_mov_b32_e32 v9, s23
	v_mov_b32_e32 v10, v4
	;; [unrolled: 1-line block ×4, first 2 shown]
	s_waitcnt vmcnt(0) lgkmcnt(0)
	v_mul_f32_e64 v11, v11, -v3
.LBB16_36:                              ;   Parent Loop BB16_20 Depth=1
                                        ; =>  This Inner Loop Header: Depth=2
	v_ashrrev_i32_e32 v3, 31, v2
	v_lshlrev_b64 v[14:15], 2, v[2:3]
	v_add_co_u32_e32 v14, vcc, s11, v14
	v_addc_co_u32_e32 v15, vcc, v9, v15, vcc
	global_load_dword v3, v[14:15], off
	ds_read_b32 v13, v10
	v_add_u32_e32 v12, 0x80, v12
	v_cmp_le_i32_e32 vcc, s21, v12
	v_add_u32_e32 v10, 0x200, v10
	v_add_u32_e32 v2, s22, v2
	s_or_b64 s[14:15], vcc, s[14:15]
	s_waitcnt vmcnt(0) lgkmcnt(0)
	v_fmac_f32_e32 v3, v11, v13
	global_store_dword v[14:15], v3, off
	s_andn2_b64 exec, exec, s[14:15]
	s_cbranch_execnz .LBB16_36
	s_branch .LBB16_19
.LBB16_37:
	s_endpgm
	.section	.rodata,"a",@progbits
	.p2align	6, 0x0
	.amdhsa_kernel _ZN9rocsolver6v33100L23larf_right_kernel_smallILi128EfiPKPfEEvT1_S5_T2_lS5_lPKT0_lS6_lS5_l
		.amdhsa_group_segment_fixed_size 8200
		.amdhsa_private_segment_fixed_size 0
		.amdhsa_kernarg_size 88
		.amdhsa_user_sgpr_count 6
		.amdhsa_user_sgpr_private_segment_buffer 1
		.amdhsa_user_sgpr_dispatch_ptr 0
		.amdhsa_user_sgpr_queue_ptr 0
		.amdhsa_user_sgpr_kernarg_segment_ptr 1
		.amdhsa_user_sgpr_dispatch_id 0
		.amdhsa_user_sgpr_flat_scratch_init 0
		.amdhsa_user_sgpr_kernarg_preload_length 0
		.amdhsa_user_sgpr_kernarg_preload_offset 0
		.amdhsa_user_sgpr_private_segment_size 0
		.amdhsa_uses_dynamic_stack 0
		.amdhsa_system_sgpr_private_segment_wavefront_offset 0
		.amdhsa_system_sgpr_workgroup_id_x 1
		.amdhsa_system_sgpr_workgroup_id_y 1
		.amdhsa_system_sgpr_workgroup_id_z 0
		.amdhsa_system_sgpr_workgroup_info 0
		.amdhsa_system_vgpr_workitem_id 0
		.amdhsa_next_free_vgpr 33
		.amdhsa_next_free_sgpr 34
		.amdhsa_accum_offset 36
		.amdhsa_reserve_vcc 1
		.amdhsa_reserve_flat_scratch 0
		.amdhsa_float_round_mode_32 0
		.amdhsa_float_round_mode_16_64 0
		.amdhsa_float_denorm_mode_32 3
		.amdhsa_float_denorm_mode_16_64 3
		.amdhsa_dx10_clamp 1
		.amdhsa_ieee_mode 1
		.amdhsa_fp16_overflow 0
		.amdhsa_tg_split 0
		.amdhsa_exception_fp_ieee_invalid_op 0
		.amdhsa_exception_fp_denorm_src 0
		.amdhsa_exception_fp_ieee_div_zero 0
		.amdhsa_exception_fp_ieee_overflow 0
		.amdhsa_exception_fp_ieee_underflow 0
		.amdhsa_exception_fp_ieee_inexact 0
		.amdhsa_exception_int_div_zero 0
	.end_amdhsa_kernel
	.section	.text._ZN9rocsolver6v33100L23larf_right_kernel_smallILi128EfiPKPfEEvT1_S5_T2_lS5_lPKT0_lS6_lS5_l,"axG",@progbits,_ZN9rocsolver6v33100L23larf_right_kernel_smallILi128EfiPKPfEEvT1_S5_T2_lS5_lPKT0_lS6_lS5_l,comdat
.Lfunc_end16:
	.size	_ZN9rocsolver6v33100L23larf_right_kernel_smallILi128EfiPKPfEEvT1_S5_T2_lS5_lPKT0_lS6_lS5_l, .Lfunc_end16-_ZN9rocsolver6v33100L23larf_right_kernel_smallILi128EfiPKPfEEvT1_S5_T2_lS5_lPKT0_lS6_lS5_l
                                        ; -- End function
	.section	.AMDGPU.csdata,"",@progbits
; Kernel info:
; codeLenInByte = 2092
; NumSgprs: 38
; NumVgprs: 33
; NumAgprs: 0
; TotalNumVgprs: 33
; ScratchSize: 0
; MemoryBound: 0
; FloatMode: 240
; IeeeMode: 1
; LDSByteSize: 8200 bytes/workgroup (compile time only)
; SGPRBlocks: 4
; VGPRBlocks: 4
; NumSGPRsForWavesPerEU: 38
; NumVGPRsForWavesPerEU: 33
; AccumOffset: 36
; Occupancy: 4
; WaveLimiterHint : 1
; COMPUTE_PGM_RSRC2:SCRATCH_EN: 0
; COMPUTE_PGM_RSRC2:USER_SGPR: 6
; COMPUTE_PGM_RSRC2:TRAP_HANDLER: 0
; COMPUTE_PGM_RSRC2:TGID_X_EN: 1
; COMPUTE_PGM_RSRC2:TGID_Y_EN: 1
; COMPUTE_PGM_RSRC2:TGID_Z_EN: 0
; COMPUTE_PGM_RSRC2:TIDIG_COMP_CNT: 0
; COMPUTE_PGM_RSRC3_GFX90A:ACCUM_OFFSET: 8
; COMPUTE_PGM_RSRC3_GFX90A:TG_SPLIT: 0
	.section	.text._ZN9rocsolver6v33100L23larf_right_kernel_smallILi256EfiPKPfEEvT1_S5_T2_lS5_lPKT0_lS6_lS5_l,"axG",@progbits,_ZN9rocsolver6v33100L23larf_right_kernel_smallILi256EfiPKPfEEvT1_S5_T2_lS5_lPKT0_lS6_lS5_l,comdat
	.globl	_ZN9rocsolver6v33100L23larf_right_kernel_smallILi256EfiPKPfEEvT1_S5_T2_lS5_lPKT0_lS6_lS5_l ; -- Begin function _ZN9rocsolver6v33100L23larf_right_kernel_smallILi256EfiPKPfEEvT1_S5_T2_lS5_lPKT0_lS6_lS5_l
	.p2align	8
	.type	_ZN9rocsolver6v33100L23larf_right_kernel_smallILi256EfiPKPfEEvT1_S5_T2_lS5_lPKT0_lS6_lS5_l,@function
_ZN9rocsolver6v33100L23larf_right_kernel_smallILi256EfiPKPfEEvT1_S5_T2_lS5_lPKT0_lS6_lS5_l: ; @_ZN9rocsolver6v33100L23larf_right_kernel_smallILi256EfiPKPfEEvT1_S5_T2_lS5_lPKT0_lS6_lS5_l
; %bb.0:
	s_load_dwordx8 s[12:19], s[4:5], 0x28
	s_load_dwordx2 s[20:21], s[4:5], 0x0
	s_mov_b32 s10, s7
	s_ashr_i32 s7, s6, 31
	s_lshl_b64 s[2:3], s[6:7], 3
	s_waitcnt lgkmcnt(0)
	s_add_u32 s0, s16, s2
	s_addc_u32 s1, s17, s3
	s_load_dwordx2 s[16:17], s[0:1], 0x0
	v_cmp_gt_i32_e64 s[0:1], s21, v0
	s_and_saveexec_b64 s[22:23], s[0:1]
	s_cbranch_execz .LBB17_17
; %bb.1:
	s_load_dwordx4 s[24:27], s[4:5], 0x8
	s_load_dword s28, s[4:5], 0x18
	v_xad_u32 v2, v0, -1, s21
	s_movk_i32 s8, 0x16ff
	v_cmp_lt_u32_e32 vcc, s8, v2
	s_waitcnt lgkmcnt(0)
	s_add_u32 s2, s24, s2
	s_addc_u32 s3, s25, s3
	s_load_dwordx2 s[2:3], s[2:3], 0x0
	s_lshl_b64 s[8:9], s[26:27], 2
                                        ; implicit-def: $vgpr1
                                        ; implicit-def: $sgpr31
	s_waitcnt lgkmcnt(0)
	s_add_u32 s11, s2, s8
	s_addc_u32 s29, s3, s9
	s_sub_i32 s2, 1, s21
	s_mul_i32 s2, s2, s28
	s_cmp_lt_i32 s28, 1
	s_cselect_b32 s30, s2, 0
	s_mov_b64 s[2:3], 0
	s_and_saveexec_b64 s[8:9], vcc
	s_xor_b64 s[24:25], exec, s[8:9]
	s_cbranch_execnz .LBB17_4
; %bb.2:
	s_or_saveexec_b64 s[8:9], s[24:25]
	v_mov_b32_e32 v4, s31
	s_xor_b64 exec, exec, s[8:9]
	s_cbranch_execnz .LBB17_14
.LBB17_3:
	s_or_b64 exec, exec, s[8:9]
	s_and_b64 exec, exec, s[2:3]
	s_cbranch_execnz .LBB17_15
	s_branch .LBB17_17
.LBB17_4:
	s_lshl_b32 s31, s28, 8
	s_sub_i32 s8, 0, s31
	s_cmp_lt_i32 s31, 0
	s_cselect_b64 vcc, -1, 0
	s_and_b64 s[2:3], vcc, exec
	v_lshrrev_b32_e32 v4, 8, v2
	s_cselect_b32 s8, s8, s31
	v_mul_lo_u32 v1, v0, s28
	v_mul_hi_u32 v2, s8, v4
	v_add_u32_e32 v1, s30, v1
	v_cmp_eq_u32_e64 s[2:3], 0, v2
	v_mul_lo_u32 v2, s8, v4
	v_add_u32_e32 v3, v1, v2
	v_sub_u32_e32 v2, v1, v2
	v_cmp_gt_i32_e64 s[8:9], v2, v1
	v_cndmask_b32_e64 v2, 0, 1, s[8:9]
	v_cmp_lt_i32_e64 s[8:9], v3, v1
	v_cndmask_b32_e64 v1, 0, 1, s[8:9]
	v_cndmask_b32_e32 v1, v1, v2, vcc
	v_and_b32_e32 v1, 1, v1
	v_cmp_eq_u32_e32 vcc, 1, v1
	s_xor_b64 s[26:27], vcc, -1
	s_mov_b64 s[8:9], -1
	s_and_b64 s[26:27], s[26:27], s[2:3]
	v_mov_b32_e32 v1, v0
	s_and_saveexec_b64 s[2:3], s[26:27]
	s_cbranch_execz .LBB17_13
; %bb.5:
	v_add_u32_e32 v2, -1, v4
	v_or_b32_e32 v1, 0x100, v0
	v_lshrrev_b32_e32 v3, 1, v2
	v_add_u32_e32 v5, 1, v3
	v_cmp_lt_u32_e32 vcc, 5, v2
	v_mov_b32_e32 v9, 0
	v_pk_mov_b32 v[2:3], v[0:1], v[0:1] op_sel:[0,1]
	s_and_saveexec_b64 s[8:9], vcc
	s_cbranch_execz .LBB17_9
; %bb.6:
	v_and_b32_e32 v6, -4, v5
	v_lshlrev_b32_e32 v7, 2, v0
	s_mov_b32 s33, 0
	s_mov_b64 s[26:27], 0
	v_mov_b32_e32 v8, s29
	v_pk_mov_b32 v[2:3], v[0:1], v[0:1] op_sel:[0,1]
.LBB17_7:                               ; =>This Inner Loop Header: Depth=1
	v_mul_lo_u32 v9, v2, s28
	v_add_u32_e32 v11, 0x200, v2
	v_add_u32_e32 v10, s30, v9
	v_mul_lo_u32 v1, v3, s28
	v_mul_lo_u32 v9, v11, s28
	v_ashrrev_i32_e32 v11, 31, v10
	v_add_u32_e32 v13, 0x200, v3
	v_add_u32_e32 v12, s30, v1
	v_lshlrev_b64 v[10:11], 2, v[10:11]
	v_add_u32_e32 v14, 0x400, v2
	v_add_u32_e32 v15, 0x400, v3
	v_mul_lo_u32 v1, v13, s28
	v_ashrrev_i32_e32 v13, 31, v12
	v_add_co_u32_e32 v10, vcc, s11, v10
	v_mul_lo_u32 v15, v15, s28
	v_mul_lo_u32 v18, v14, s28
	v_add_u32_e32 v14, s30, v9
	v_lshlrev_b64 v[12:13], 2, v[12:13]
	v_addc_co_u32_e32 v11, vcc, v8, v11, vcc
	v_add_u32_e32 v16, 0x600, v2
	v_add_u32_e32 v17, 0x600, v3
	;; [unrolled: 1-line block ×3, first 2 shown]
	v_ashrrev_i32_e32 v15, 31, v14
	v_add_co_u32_e32 v12, vcc, s11, v12
	v_mul_lo_u32 v17, v17, s28
	v_mul_lo_u32 v19, v16, s28
	v_add_u32_e32 v16, s30, v1
	v_addc_co_u32_e32 v13, vcc, v8, v13, vcc
	v_lshlrev_b64 v[14:15], 2, v[14:15]
	v_add_u32_e32 v24, s30, v17
	v_ashrrev_i32_e32 v17, 31, v16
	v_add_co_u32_e32 v14, vcc, s11, v14
	v_add_u32_e32 v18, s30, v18
	v_lshlrev_b64 v[16:17], 2, v[16:17]
	v_addc_co_u32_e32 v15, vcc, v8, v15, vcc
	v_add_u32_e32 v22, s30, v19
	v_ashrrev_i32_e32 v19, 31, v18
	v_add_co_u32_e32 v16, vcc, s11, v16
	v_lshlrev_b64 v[18:19], 2, v[18:19]
	v_addc_co_u32_e32 v17, vcc, v8, v17, vcc
	v_ashrrev_i32_e32 v21, 31, v20
	v_add_co_u32_e32 v18, vcc, s11, v18
	v_lshlrev_b64 v[20:21], 2, v[20:21]
	v_addc_co_u32_e32 v19, vcc, v8, v19, vcc
	;; [unrolled: 4-line block ×4, first 2 shown]
	v_add_co_u32_e32 v24, vcc, s11, v24
	v_addc_co_u32_e32 v25, vcc, v8, v25, vcc
	global_load_dword v1, v[10:11], off
	global_load_dword v26, v[12:13], off
	;; [unrolled: 1-line block ×8, first 2 shown]
	v_add_u32_e32 v6, -4, v6
	s_add_i32 s33, s33, 8
	v_cmp_eq_u32_e32 vcc, 0, v6
	v_add_u32_e32 v3, 0x800, v3
	v_add_u32_e32 v2, 0x800, v2
	v_mov_b32_e32 v9, s33
	s_or_b64 s[26:27], vcc, s[26:27]
	s_waitcnt vmcnt(6)
	ds_write2st64_b32 v7, v1, v26 offset1:4
	s_waitcnt vmcnt(4)
	ds_write2st64_b32 v7, v27, v28 offset0:8 offset1:12
	s_waitcnt vmcnt(2)
	ds_write2st64_b32 v7, v29, v30 offset0:16 offset1:20
	;; [unrolled: 2-line block ×3, first 2 shown]
	v_add_u32_e32 v7, 0x2000, v7
	s_andn2_b64 exec, exec, s[26:27]
	s_cbranch_execnz .LBB17_7
; %bb.8:
	s_or_b64 exec, exec, s[26:27]
.LBB17_9:
	s_or_b64 exec, exec, s[8:9]
	v_and_b32_e32 v1, 3, v5
	v_cmp_ne_u32_e32 vcc, 0, v1
	s_and_saveexec_b64 s[8:9], vcc
	s_cbranch_execz .LBB17_12
; %bb.10:
	v_lshlrev_b32_e32 v5, 2, v0
	v_lshl_or_b32 v5, v9, 10, v5
	s_mov_b64 s[26:27], 0
	v_mov_b32_e32 v6, s29
.LBB17_11:                              ; =>This Inner Loop Header: Depth=1
	v_mul_lo_u32 v8, v2, s28
	v_add_u32_e32 v8, s30, v8
	v_mul_lo_u32 v7, v3, s28
	v_ashrrev_i32_e32 v9, 31, v8
	v_add_u32_e32 v10, s30, v7
	v_lshlrev_b64 v[8:9], 2, v[8:9]
	v_ashrrev_i32_e32 v11, 31, v10
	v_add_co_u32_e32 v8, vcc, s11, v8
	v_lshlrev_b64 v[10:11], 2, v[10:11]
	v_addc_co_u32_e32 v9, vcc, v6, v9, vcc
	v_add_co_u32_e32 v10, vcc, s11, v10
	v_addc_co_u32_e32 v11, vcc, v6, v11, vcc
	global_load_dword v7, v[8:9], off
	global_load_dword v12, v[10:11], off
	v_add_u32_e32 v1, -1, v1
	v_cmp_eq_u32_e32 vcc, 0, v1
	v_add_u32_e32 v3, 0x200, v3
	v_add_u32_e32 v2, 0x200, v2
	s_or_b64 s[26:27], vcc, s[26:27]
	s_waitcnt vmcnt(0)
	ds_write2st64_b32 v5, v7, v12 offset1:4
	v_add_u32_e32 v5, 0x800, v5
	s_andn2_b64 exec, exec, s[26:27]
	s_cbranch_execnz .LBB17_11
.LBB17_12:
	s_or_b64 exec, exec, s[8:9]
	v_add_u32_e32 v2, 1, v4
	v_and_b32_e32 v3, 0x1fffffe, v2
	v_cmp_ne_u32_e32 vcc, v2, v3
	v_lshl_or_b32 v1, v3, 8, v0
	s_orn2_b64 s[8:9], vcc, exec
.LBB17_13:
	s_or_b64 exec, exec, s[2:3]
	s_and_b64 s[2:3], s[8:9], exec
	s_or_saveexec_b64 s[8:9], s[24:25]
	v_mov_b32_e32 v4, s31
	s_xor_b64 exec, exec, s[8:9]
	s_cbranch_execz .LBB17_3
.LBB17_14:
	s_lshl_b32 s24, s28, 8
	v_mov_b32_e32 v4, s24
	s_or_b64 s[2:3], s[2:3], exec
	v_mov_b32_e32 v1, v0
	s_or_b64 exec, exec, s[8:9]
	s_and_b64 exec, exec, s[2:3]
	s_cbranch_execz .LBB17_17
.LBB17_15:
	v_mul_lo_u32 v2, v1, s28
	v_add_u32_e32 v2, s30, v2
	v_lshlrev_b32_e32 v5, 2, v1
	s_mov_b64 s[2:3], 0
	v_mov_b32_e32 v6, s29
.LBB17_16:                              ; =>This Inner Loop Header: Depth=1
	v_ashrrev_i32_e32 v3, 31, v2
	v_lshlrev_b64 v[8:9], 2, v[2:3]
	v_add_co_u32_e32 v8, vcc, s11, v8
	v_addc_co_u32_e32 v9, vcc, v6, v9, vcc
	global_load_dword v3, v[8:9], off
	v_add_u32_e32 v1, 0x100, v1
	v_cmp_le_i32_e32 vcc, s21, v1
	v_add_u32_e32 v2, v2, v4
	s_or_b64 s[2:3], vcc, s[2:3]
	s_waitcnt vmcnt(0)
	ds_write_b32 v5, v3
	v_add_u32_e32 v5, 0x400, v5
	s_andn2_b64 exec, exec, s[2:3]
	s_cbranch_execnz .LBB17_16
.LBB17_17:
	s_or_b64 exec, exec, s[22:23]
	s_cmp_ge_i32 s10, s20
	s_waitcnt lgkmcnt(0)
	s_barrier
	s_cbranch_scc1 .LBB17_37
; %bb.18:
	s_lshl_b64 s[2:3], s[18:19], 2
	s_add_u32 s18, s16, s2
	s_addc_u32 s19, s17, s3
	s_mul_i32 s2, s6, s15
	s_mul_hi_u32 s3, s6, s14
	s_add_i32 s2, s3, s2
	s_mul_i32 s3, s7, s14
	s_load_dword s11, s[4:5], 0x48
	s_add_i32 s3, s2, s3
	s_mul_i32 s2, s6, s14
	s_lshl_b64 s[2:3], s[2:3], 2
	s_add_u32 s6, s12, s2
	s_addc_u32 s7, s13, s3
	v_mbcnt_lo_u32_b32 v2, -1, 0
	s_cmp_gt_i32 s21, 1
	v_and_b32_e32 v1, 63, v0
	v_mbcnt_hi_u32_b32 v8, -1, v2
	s_cselect_b64 s[8:9], -1, 0
	v_cmp_eq_u32_e64 s[2:3], 0, v1
	v_lshrrev_b32_e32 v1, 4, v0
	v_cmp_eq_u32_e64 s[4:5], 0, v0
	v_lshlrev_b32_e32 v4, 2, v0
	s_waitcnt lgkmcnt(0)
	v_mul_lo_u32 v5, v0, s11
	s_lshl_b32 s22, s11, 8
	v_mov_b32_e32 v6, 0x2004
	v_mov_b32_e32 v7, 0
	v_and_b32_e32 v9, 63, v8
	s_branch .LBB17_20
.LBB17_19:                              ;   in Loop: Header=BB17_20 Depth=1
	s_or_b64 exec, exec, s[12:13]
	s_add_i32 s10, s10, 64
	s_cmp_ge_i32 s10, s20
	s_cbranch_scc1 .LBB17_37
.LBB17_20:                              ; =>This Loop Header: Depth=1
                                        ;     Child Loop BB17_22 Depth 2
                                        ;     Child Loop BB17_36 Depth 2
	s_ashr_i32 s11, s10, 31
	s_lshl_b64 s[12:13], s[10:11], 2
	s_add_u32 s11, s18, s12
	s_addc_u32 s23, s19, s13
	v_mov_b32_e32 v10, 0
	s_and_saveexec_b64 s[12:13], s[0:1]
	s_cbranch_execz .LBB17_24
; %bb.21:                               ;   in Loop: Header=BB17_20 Depth=1
	s_mov_b64 s[14:15], 0
	v_mov_b32_e32 v10, 0
	v_mov_b32_e32 v11, s23
	;; [unrolled: 1-line block ×5, first 2 shown]
.LBB17_22:                              ;   Parent Loop BB17_20 Depth=1
                                        ; =>  This Inner Loop Header: Depth=2
	v_ashrrev_i32_e32 v3, 31, v2
	v_lshlrev_b64 v[14:15], 2, v[2:3]
	v_add_co_u32_e32 v14, vcc, s11, v14
	v_addc_co_u32_e32 v15, vcc, v11, v15, vcc
	global_load_dword v3, v[14:15], off
	ds_read_b32 v14, v12
	v_add_u32_e32 v13, 0x100, v13
	v_cmp_le_i32_e32 vcc, s21, v13
	v_add_u32_e32 v12, 0x400, v12
	v_add_u32_e32 v2, s22, v2
	s_or_b64 s[14:15], vcc, s[14:15]
	s_waitcnt vmcnt(0) lgkmcnt(0)
	v_mul_f32_e32 v3, v14, v3
	v_add_f32_e32 v10, v10, v3
	s_andn2_b64 exec, exec, s[14:15]
	s_cbranch_execnz .LBB17_22
; %bb.23:                               ;   in Loop: Header=BB17_20 Depth=1
	s_or_b64 exec, exec, s[14:15]
.LBB17_24:                              ;   in Loop: Header=BB17_20 Depth=1
	s_or_b64 exec, exec, s[12:13]
	s_and_b64 vcc, exec, s[8:9]
	s_cbranch_vccz .LBB17_31
; %bb.25:                               ;   in Loop: Header=BB17_20 Depth=1
	v_cmp_ne_u32_e32 vcc, 63, v9
	v_addc_co_u32_e32 v2, vcc, 0, v8, vcc
	v_lshlrev_b32_e32 v2, 2, v2
	ds_bpermute_b32 v2, v2, v10
	v_cmp_gt_u32_e32 vcc, 62, v9
	v_cndmask_b32_e64 v3, 0, 1, vcc
	v_lshlrev_b32_e32 v3, 1, v3
	v_add_lshl_u32 v3, v3, v8, 2
	s_waitcnt lgkmcnt(0)
	v_add_f32_e32 v2, v10, v2
	ds_bpermute_b32 v3, v3, v2
	v_cmp_gt_u32_e32 vcc, 60, v9
	v_cndmask_b32_e64 v11, 0, 1, vcc
	v_cmp_gt_u32_e32 vcc, 56, v9
	s_waitcnt lgkmcnt(0)
	v_add_f32_e32 v2, v2, v3
	v_lshlrev_b32_e32 v3, 2, v11
	v_add_lshl_u32 v3, v3, v8, 2
	ds_bpermute_b32 v3, v3, v2
	v_cndmask_b32_e64 v11, 0, 1, vcc
	v_cmp_gt_u32_e32 vcc, 48, v9
	s_waitcnt lgkmcnt(0)
	v_add_f32_e32 v2, v2, v3
	v_lshlrev_b32_e32 v3, 3, v11
	v_add_lshl_u32 v3, v3, v8, 2
	ds_bpermute_b32 v3, v3, v2
	;; [unrolled: 7-line block ×3, first 2 shown]
	v_cndmask_b32_e64 v11, 0, 1, vcc
	s_waitcnt lgkmcnt(0)
	v_add_f32_e32 v2, v2, v3
	v_lshlrev_b32_e32 v3, 5, v11
	v_add_lshl_u32 v3, v3, v8, 2
	ds_bpermute_b32 v3, v3, v2
	s_waitcnt lgkmcnt(0)
	v_add_f32_e32 v3, v2, v3
	s_and_saveexec_b64 s[12:13], s[2:3]
	s_cbranch_execz .LBB17_27
; %bb.26:                               ;   in Loop: Header=BB17_20 Depth=1
	ds_write_b32 v1, v3 offset:8192
.LBB17_27:                              ;   in Loop: Header=BB17_20 Depth=1
	s_or_b64 exec, exec, s[12:13]
	s_mov_b64 s[14:15], 0
	s_mov_b64 s[12:13], 0
	s_waitcnt lgkmcnt(0)
	s_barrier
	s_waitcnt lgkmcnt(0)
                                        ; implicit-def: $vgpr2
	s_and_saveexec_b64 s[16:17], s[4:5]
	s_xor_b64 s[16:17], exec, s[16:17]
	s_cbranch_execz .LBB17_29
; %bb.28:                               ;   in Loop: Header=BB17_20 Depth=1
	ds_read2_b32 v[12:13], v6 offset1:1
	ds_read_b32 v2, v7 offset:8204
	s_mov_b64 s[12:13], exec
	s_waitcnt lgkmcnt(1)
	v_add_f32_e32 v3, v3, v12
	v_add_f32_e32 v3, v3, v13
	s_waitcnt lgkmcnt(0)
	v_add_f32_e32 v2, v3, v2
.LBB17_29:                              ;   in Loop: Header=BB17_20 Depth=1
	s_or_b64 exec, exec, s[16:17]
	s_and_b64 vcc, exec, s[14:15]
	s_cbranch_vccnz .LBB17_32
.LBB17_30:                              ;   in Loop: Header=BB17_20 Depth=1
	v_mov_b32_e32 v10, v2
	s_and_saveexec_b64 s[14:15], s[12:13]
	s_cbranch_execnz .LBB17_33
	s_branch .LBB17_34
.LBB17_31:                              ;   in Loop: Header=BB17_20 Depth=1
	s_mov_b64 s[12:13], 0
                                        ; implicit-def: $vgpr2
	s_cbranch_execz .LBB17_30
.LBB17_32:                              ;   in Loop: Header=BB17_20 Depth=1
	s_andn2_b64 s[12:13], s[12:13], exec
	s_and_b64 s[14:15], s[4:5], exec
	s_or_b64 s[12:13], s[12:13], s[14:15]
	s_and_saveexec_b64 s[14:15], s[12:13]
	s_cbranch_execz .LBB17_34
.LBB17_33:                              ;   in Loop: Header=BB17_20 Depth=1
	ds_write_b32 v7, v10 offset:8192
.LBB17_34:                              ;   in Loop: Header=BB17_20 Depth=1
	s_or_b64 exec, exec, s[14:15]
	s_waitcnt lgkmcnt(0)
	s_barrier
	s_and_saveexec_b64 s[12:13], s[0:1]
	s_cbranch_execz .LBB17_19
; %bb.35:                               ;   in Loop: Header=BB17_20 Depth=1
	global_load_dword v3, v7, s[6:7]
	ds_read_b32 v12, v7 offset:8192
	s_mov_b64 s[14:15], 0
	v_mov_b32_e32 v10, s23
	v_mov_b32_e32 v11, v4
	;; [unrolled: 1-line block ×4, first 2 shown]
	s_waitcnt vmcnt(0) lgkmcnt(0)
	v_mul_f32_e64 v12, v12, -v3
.LBB17_36:                              ;   Parent Loop BB17_20 Depth=1
                                        ; =>  This Inner Loop Header: Depth=2
	v_ashrrev_i32_e32 v3, 31, v2
	v_lshlrev_b64 v[14:15], 2, v[2:3]
	v_add_co_u32_e32 v14, vcc, s11, v14
	v_addc_co_u32_e32 v15, vcc, v10, v15, vcc
	global_load_dword v3, v[14:15], off
	ds_read_b32 v16, v11
	v_add_u32_e32 v13, 0x100, v13
	v_cmp_le_i32_e32 vcc, s21, v13
	v_add_u32_e32 v11, 0x400, v11
	v_add_u32_e32 v2, s22, v2
	s_or_b64 s[14:15], vcc, s[14:15]
	s_waitcnt vmcnt(0) lgkmcnt(0)
	v_fmac_f32_e32 v3, v12, v16
	global_store_dword v[14:15], v3, off
	s_andn2_b64 exec, exec, s[14:15]
	s_cbranch_execnz .LBB17_36
	s_branch .LBB17_19
.LBB17_37:
	s_endpgm
	.section	.rodata,"a",@progbits
	.p2align	6, 0x0
	.amdhsa_kernel _ZN9rocsolver6v33100L23larf_right_kernel_smallILi256EfiPKPfEEvT1_S5_T2_lS5_lPKT0_lS6_lS5_l
		.amdhsa_group_segment_fixed_size 8208
		.amdhsa_private_segment_fixed_size 0
		.amdhsa_kernarg_size 88
		.amdhsa_user_sgpr_count 6
		.amdhsa_user_sgpr_private_segment_buffer 1
		.amdhsa_user_sgpr_dispatch_ptr 0
		.amdhsa_user_sgpr_queue_ptr 0
		.amdhsa_user_sgpr_kernarg_segment_ptr 1
		.amdhsa_user_sgpr_dispatch_id 0
		.amdhsa_user_sgpr_flat_scratch_init 0
		.amdhsa_user_sgpr_kernarg_preload_length 0
		.amdhsa_user_sgpr_kernarg_preload_offset 0
		.amdhsa_user_sgpr_private_segment_size 0
		.amdhsa_uses_dynamic_stack 0
		.amdhsa_system_sgpr_private_segment_wavefront_offset 0
		.amdhsa_system_sgpr_workgroup_id_x 1
		.amdhsa_system_sgpr_workgroup_id_y 1
		.amdhsa_system_sgpr_workgroup_id_z 0
		.amdhsa_system_sgpr_workgroup_info 0
		.amdhsa_system_vgpr_workitem_id 0
		.amdhsa_next_free_vgpr 33
		.amdhsa_next_free_sgpr 34
		.amdhsa_accum_offset 36
		.amdhsa_reserve_vcc 1
		.amdhsa_reserve_flat_scratch 0
		.amdhsa_float_round_mode_32 0
		.amdhsa_float_round_mode_16_64 0
		.amdhsa_float_denorm_mode_32 3
		.amdhsa_float_denorm_mode_16_64 3
		.amdhsa_dx10_clamp 1
		.amdhsa_ieee_mode 1
		.amdhsa_fp16_overflow 0
		.amdhsa_tg_split 0
		.amdhsa_exception_fp_ieee_invalid_op 0
		.amdhsa_exception_fp_denorm_src 0
		.amdhsa_exception_fp_ieee_div_zero 0
		.amdhsa_exception_fp_ieee_overflow 0
		.amdhsa_exception_fp_ieee_underflow 0
		.amdhsa_exception_fp_ieee_inexact 0
		.amdhsa_exception_int_div_zero 0
	.end_amdhsa_kernel
	.section	.text._ZN9rocsolver6v33100L23larf_right_kernel_smallILi256EfiPKPfEEvT1_S5_T2_lS5_lPKT0_lS6_lS5_l,"axG",@progbits,_ZN9rocsolver6v33100L23larf_right_kernel_smallILi256EfiPKPfEEvT1_S5_T2_lS5_lPKT0_lS6_lS5_l,comdat
.Lfunc_end17:
	.size	_ZN9rocsolver6v33100L23larf_right_kernel_smallILi256EfiPKPfEEvT1_S5_T2_lS5_lPKT0_lS6_lS5_l, .Lfunc_end17-_ZN9rocsolver6v33100L23larf_right_kernel_smallILi256EfiPKPfEEvT1_S5_T2_lS5_lPKT0_lS6_lS5_l
                                        ; -- End function
	.section	.AMDGPU.csdata,"",@progbits
; Kernel info:
; codeLenInByte = 2120
; NumSgprs: 38
; NumVgprs: 33
; NumAgprs: 0
; TotalNumVgprs: 33
; ScratchSize: 0
; MemoryBound: 0
; FloatMode: 240
; IeeeMode: 1
; LDSByteSize: 8208 bytes/workgroup (compile time only)
; SGPRBlocks: 4
; VGPRBlocks: 4
; NumSGPRsForWavesPerEU: 38
; NumVGPRsForWavesPerEU: 33
; AccumOffset: 36
; Occupancy: 7
; WaveLimiterHint : 1
; COMPUTE_PGM_RSRC2:SCRATCH_EN: 0
; COMPUTE_PGM_RSRC2:USER_SGPR: 6
; COMPUTE_PGM_RSRC2:TRAP_HANDLER: 0
; COMPUTE_PGM_RSRC2:TGID_X_EN: 1
; COMPUTE_PGM_RSRC2:TGID_Y_EN: 1
; COMPUTE_PGM_RSRC2:TGID_Z_EN: 0
; COMPUTE_PGM_RSRC2:TIDIG_COMP_CNT: 0
; COMPUTE_PGM_RSRC3_GFX90A:ACCUM_OFFSET: 8
; COMPUTE_PGM_RSRC3_GFX90A:TG_SPLIT: 0
	.section	.text._ZN9rocsolver6v33100L23larf_right_kernel_smallILi512EfiPKPfEEvT1_S5_T2_lS5_lPKT0_lS6_lS5_l,"axG",@progbits,_ZN9rocsolver6v33100L23larf_right_kernel_smallILi512EfiPKPfEEvT1_S5_T2_lS5_lPKT0_lS6_lS5_l,comdat
	.globl	_ZN9rocsolver6v33100L23larf_right_kernel_smallILi512EfiPKPfEEvT1_S5_T2_lS5_lPKT0_lS6_lS5_l ; -- Begin function _ZN9rocsolver6v33100L23larf_right_kernel_smallILi512EfiPKPfEEvT1_S5_T2_lS5_lPKT0_lS6_lS5_l
	.p2align	8
	.type	_ZN9rocsolver6v33100L23larf_right_kernel_smallILi512EfiPKPfEEvT1_S5_T2_lS5_lPKT0_lS6_lS5_l,@function
_ZN9rocsolver6v33100L23larf_right_kernel_smallILi512EfiPKPfEEvT1_S5_T2_lS5_lPKT0_lS6_lS5_l: ; @_ZN9rocsolver6v33100L23larf_right_kernel_smallILi512EfiPKPfEEvT1_S5_T2_lS5_lPKT0_lS6_lS5_l
; %bb.0:
	s_load_dwordx8 s[12:19], s[4:5], 0x28
	s_load_dwordx2 s[20:21], s[4:5], 0x0
	s_mov_b32 s10, s7
	s_ashr_i32 s7, s6, 31
	s_lshl_b64 s[2:3], s[6:7], 3
	s_waitcnt lgkmcnt(0)
	s_add_u32 s0, s16, s2
	s_addc_u32 s1, s17, s3
	s_load_dwordx2 s[16:17], s[0:1], 0x0
	v_cmp_gt_i32_e64 s[0:1], s21, v0
	s_and_saveexec_b64 s[22:23], s[0:1]
	s_cbranch_execz .LBB18_17
; %bb.1:
	s_load_dwordx4 s[24:27], s[4:5], 0x8
	s_load_dword s28, s[4:5], 0x18
	v_xad_u32 v2, v0, -1, s21
	s_movk_i32 s8, 0x2dff
	v_cmp_lt_u32_e32 vcc, s8, v2
	s_waitcnt lgkmcnt(0)
	s_add_u32 s2, s24, s2
	s_addc_u32 s3, s25, s3
	s_load_dwordx2 s[2:3], s[2:3], 0x0
	s_lshl_b64 s[8:9], s[26:27], 2
                                        ; implicit-def: $vgpr1
                                        ; implicit-def: $sgpr31
	s_waitcnt lgkmcnt(0)
	s_add_u32 s11, s2, s8
	s_addc_u32 s29, s3, s9
	s_sub_i32 s2, 1, s21
	s_mul_i32 s2, s2, s28
	s_cmp_lt_i32 s28, 1
	s_cselect_b32 s30, s2, 0
	s_mov_b64 s[2:3], 0
	s_and_saveexec_b64 s[8:9], vcc
	s_xor_b64 s[24:25], exec, s[8:9]
	s_cbranch_execnz .LBB18_4
; %bb.2:
	s_or_saveexec_b64 s[8:9], s[24:25]
	v_mov_b32_e32 v4, s31
	s_xor_b64 exec, exec, s[8:9]
	s_cbranch_execnz .LBB18_14
.LBB18_3:
	s_or_b64 exec, exec, s[8:9]
	s_and_b64 exec, exec, s[2:3]
	s_cbranch_execnz .LBB18_15
	s_branch .LBB18_17
.LBB18_4:
	s_lshl_b32 s31, s28, 9
	s_sub_i32 s8, 0, s31
	s_cmp_lt_i32 s31, 0
	s_cselect_b64 vcc, -1, 0
	s_and_b64 s[2:3], vcc, exec
	v_lshrrev_b32_e32 v4, 9, v2
	s_cselect_b32 s8, s8, s31
	v_mul_lo_u32 v1, v0, s28
	v_mul_hi_u32 v2, s8, v4
	v_add_u32_e32 v1, s30, v1
	v_cmp_eq_u32_e64 s[2:3], 0, v2
	v_mul_lo_u32 v2, s8, v4
	v_add_u32_e32 v3, v1, v2
	v_sub_u32_e32 v2, v1, v2
	v_cmp_gt_i32_e64 s[8:9], v2, v1
	v_cndmask_b32_e64 v2, 0, 1, s[8:9]
	v_cmp_lt_i32_e64 s[8:9], v3, v1
	v_cndmask_b32_e64 v1, 0, 1, s[8:9]
	v_cndmask_b32_e32 v1, v1, v2, vcc
	v_and_b32_e32 v1, 1, v1
	v_cmp_eq_u32_e32 vcc, 1, v1
	s_xor_b64 s[26:27], vcc, -1
	s_mov_b64 s[8:9], -1
	s_and_b64 s[26:27], s[26:27], s[2:3]
	v_mov_b32_e32 v1, v0
	s_and_saveexec_b64 s[2:3], s[26:27]
	s_cbranch_execz .LBB18_13
; %bb.5:
	v_add_u32_e32 v2, -1, v4
	v_or_b32_e32 v1, 0x200, v0
	v_lshrrev_b32_e32 v3, 1, v2
	v_add_u32_e32 v5, 1, v3
	v_cmp_lt_u32_e32 vcc, 5, v2
	v_mov_b32_e32 v9, 0
	v_pk_mov_b32 v[2:3], v[0:1], v[0:1] op_sel:[0,1]
	s_and_saveexec_b64 s[8:9], vcc
	s_cbranch_execz .LBB18_9
; %bb.6:
	v_and_b32_e32 v6, -4, v5
	v_lshlrev_b32_e32 v7, 2, v0
	s_mov_b32 s33, 0
	s_mov_b64 s[26:27], 0
	v_mov_b32_e32 v8, s29
	v_pk_mov_b32 v[2:3], v[0:1], v[0:1] op_sel:[0,1]
.LBB18_7:                               ; =>This Inner Loop Header: Depth=1
	v_mul_lo_u32 v9, v2, s28
	v_add_u32_e32 v11, 0x400, v2
	v_add_u32_e32 v10, s30, v9
	v_mul_lo_u32 v1, v3, s28
	v_mul_lo_u32 v9, v11, s28
	v_ashrrev_i32_e32 v11, 31, v10
	v_add_u32_e32 v13, 0x400, v3
	v_add_u32_e32 v12, s30, v1
	v_lshlrev_b64 v[10:11], 2, v[10:11]
	v_add_u32_e32 v14, 0x800, v2
	v_add_u32_e32 v15, 0x800, v3
	v_mul_lo_u32 v1, v13, s28
	v_ashrrev_i32_e32 v13, 31, v12
	v_add_co_u32_e32 v10, vcc, s11, v10
	v_mul_lo_u32 v15, v15, s28
	v_mul_lo_u32 v18, v14, s28
	v_add_u32_e32 v14, s30, v9
	v_lshlrev_b64 v[12:13], 2, v[12:13]
	v_addc_co_u32_e32 v11, vcc, v8, v11, vcc
	v_add_u32_e32 v16, 0xc00, v2
	v_add_u32_e32 v17, 0xc00, v3
	;; [unrolled: 1-line block ×3, first 2 shown]
	v_ashrrev_i32_e32 v15, 31, v14
	v_add_co_u32_e32 v12, vcc, s11, v12
	v_mul_lo_u32 v17, v17, s28
	v_mul_lo_u32 v19, v16, s28
	v_add_u32_e32 v16, s30, v1
	v_addc_co_u32_e32 v13, vcc, v8, v13, vcc
	v_lshlrev_b64 v[14:15], 2, v[14:15]
	v_add_u32_e32 v24, s30, v17
	v_ashrrev_i32_e32 v17, 31, v16
	v_add_co_u32_e32 v14, vcc, s11, v14
	v_add_u32_e32 v18, s30, v18
	v_lshlrev_b64 v[16:17], 2, v[16:17]
	v_addc_co_u32_e32 v15, vcc, v8, v15, vcc
	v_add_u32_e32 v22, s30, v19
	v_ashrrev_i32_e32 v19, 31, v18
	v_add_co_u32_e32 v16, vcc, s11, v16
	v_lshlrev_b64 v[18:19], 2, v[18:19]
	v_addc_co_u32_e32 v17, vcc, v8, v17, vcc
	v_ashrrev_i32_e32 v21, 31, v20
	v_add_co_u32_e32 v18, vcc, s11, v18
	v_lshlrev_b64 v[20:21], 2, v[20:21]
	v_addc_co_u32_e32 v19, vcc, v8, v19, vcc
	;; [unrolled: 4-line block ×4, first 2 shown]
	v_add_co_u32_e32 v24, vcc, s11, v24
	v_addc_co_u32_e32 v25, vcc, v8, v25, vcc
	global_load_dword v1, v[10:11], off
	global_load_dword v26, v[12:13], off
	;; [unrolled: 1-line block ×8, first 2 shown]
	v_add_u32_e32 v6, -4, v6
	s_add_i32 s33, s33, 8
	v_cmp_eq_u32_e32 vcc, 0, v6
	v_add_u32_e32 v3, 0x1000, v3
	v_add_u32_e32 v2, 0x1000, v2
	v_mov_b32_e32 v9, s33
	s_or_b64 s[26:27], vcc, s[26:27]
	s_waitcnt vmcnt(6)
	ds_write2st64_b32 v7, v1, v26 offset1:8
	s_waitcnt vmcnt(4)
	ds_write2st64_b32 v7, v27, v28 offset0:16 offset1:24
	s_waitcnt vmcnt(2)
	ds_write2st64_b32 v7, v29, v30 offset0:32 offset1:40
	;; [unrolled: 2-line block ×3, first 2 shown]
	v_add_u32_e32 v7, 0x4000, v7
	s_andn2_b64 exec, exec, s[26:27]
	s_cbranch_execnz .LBB18_7
; %bb.8:
	s_or_b64 exec, exec, s[26:27]
.LBB18_9:
	s_or_b64 exec, exec, s[8:9]
	v_and_b32_e32 v1, 3, v5
	v_cmp_ne_u32_e32 vcc, 0, v1
	s_and_saveexec_b64 s[8:9], vcc
	s_cbranch_execz .LBB18_12
; %bb.10:
	v_lshlrev_b32_e32 v5, 2, v0
	v_lshl_or_b32 v5, v9, 11, v5
	s_mov_b64 s[26:27], 0
	v_mov_b32_e32 v6, s29
.LBB18_11:                              ; =>This Inner Loop Header: Depth=1
	v_mul_lo_u32 v8, v2, s28
	v_add_u32_e32 v8, s30, v8
	v_mul_lo_u32 v7, v3, s28
	v_ashrrev_i32_e32 v9, 31, v8
	v_add_u32_e32 v10, s30, v7
	v_lshlrev_b64 v[8:9], 2, v[8:9]
	v_ashrrev_i32_e32 v11, 31, v10
	v_add_co_u32_e32 v8, vcc, s11, v8
	v_lshlrev_b64 v[10:11], 2, v[10:11]
	v_addc_co_u32_e32 v9, vcc, v6, v9, vcc
	v_add_co_u32_e32 v10, vcc, s11, v10
	v_addc_co_u32_e32 v11, vcc, v6, v11, vcc
	global_load_dword v7, v[8:9], off
	global_load_dword v12, v[10:11], off
	v_add_u32_e32 v1, -1, v1
	v_cmp_eq_u32_e32 vcc, 0, v1
	v_add_u32_e32 v3, 0x400, v3
	v_add_u32_e32 v2, 0x400, v2
	s_or_b64 s[26:27], vcc, s[26:27]
	s_waitcnt vmcnt(0)
	ds_write2st64_b32 v5, v7, v12 offset1:8
	v_add_u32_e32 v5, 0x1000, v5
	s_andn2_b64 exec, exec, s[26:27]
	s_cbranch_execnz .LBB18_11
.LBB18_12:
	s_or_b64 exec, exec, s[8:9]
	v_add_u32_e32 v2, 1, v4
	v_and_b32_e32 v3, 0xfffffe, v2
	v_cmp_ne_u32_e32 vcc, v2, v3
	v_lshl_or_b32 v1, v3, 9, v0
	s_orn2_b64 s[8:9], vcc, exec
.LBB18_13:
	s_or_b64 exec, exec, s[2:3]
	s_and_b64 s[2:3], s[8:9], exec
	s_or_saveexec_b64 s[8:9], s[24:25]
	v_mov_b32_e32 v4, s31
	s_xor_b64 exec, exec, s[8:9]
	s_cbranch_execz .LBB18_3
.LBB18_14:
	s_lshl_b32 s24, s28, 9
	v_mov_b32_e32 v4, s24
	s_or_b64 s[2:3], s[2:3], exec
	v_mov_b32_e32 v1, v0
	s_or_b64 exec, exec, s[8:9]
	s_and_b64 exec, exec, s[2:3]
	s_cbranch_execz .LBB18_17
.LBB18_15:
	v_mul_lo_u32 v2, v1, s28
	v_add_u32_e32 v2, s30, v2
	v_lshlrev_b32_e32 v5, 2, v1
	s_mov_b64 s[2:3], 0
	v_mov_b32_e32 v6, s29
.LBB18_16:                              ; =>This Inner Loop Header: Depth=1
	v_ashrrev_i32_e32 v3, 31, v2
	v_lshlrev_b64 v[8:9], 2, v[2:3]
	v_add_co_u32_e32 v8, vcc, s11, v8
	v_addc_co_u32_e32 v9, vcc, v6, v9, vcc
	global_load_dword v3, v[8:9], off
	v_add_u32_e32 v1, 0x200, v1
	v_cmp_le_i32_e32 vcc, s21, v1
	v_add_u32_e32 v2, v2, v4
	s_or_b64 s[2:3], vcc, s[2:3]
	s_waitcnt vmcnt(0)
	ds_write_b32 v5, v3
	v_add_u32_e32 v5, 0x800, v5
	s_andn2_b64 exec, exec, s[2:3]
	s_cbranch_execnz .LBB18_16
.LBB18_17:
	s_or_b64 exec, exec, s[22:23]
	s_cmp_ge_i32 s10, s20
	s_waitcnt lgkmcnt(0)
	s_barrier
	s_cbranch_scc1 .LBB18_37
; %bb.18:
	s_lshl_b64 s[2:3], s[18:19], 2
	s_add_u32 s18, s16, s2
	s_addc_u32 s19, s17, s3
	s_mul_i32 s2, s6, s15
	s_mul_hi_u32 s3, s6, s14
	s_add_i32 s2, s3, s2
	s_mul_i32 s3, s7, s14
	s_load_dword s11, s[4:5], 0x48
	s_add_i32 s3, s2, s3
	s_mul_i32 s2, s6, s14
	s_lshl_b64 s[2:3], s[2:3], 2
	s_add_u32 s6, s12, s2
	s_addc_u32 s7, s13, s3
	v_mbcnt_lo_u32_b32 v2, -1, 0
	s_cmp_gt_i32 s21, 1
	v_and_b32_e32 v1, 63, v0
	v_mbcnt_hi_u32_b32 v10, -1, v2
	s_cselect_b64 s[8:9], -1, 0
	v_cmp_eq_u32_e64 s[2:3], 0, v1
	v_lshrrev_b32_e32 v1, 4, v0
	v_cmp_eq_u32_e64 s[4:5], 0, v0
	v_lshlrev_b32_e32 v4, 2, v0
	s_waitcnt lgkmcnt(0)
	v_mul_lo_u32 v5, v0, s11
	s_lshl_b32 s22, s11, 9
	v_mov_b32_e32 v6, 0x2004
	v_mov_b32_e32 v7, 0x200c
	;; [unrolled: 1-line block ×4, first 2 shown]
	v_and_b32_e32 v11, 63, v10
	s_branch .LBB18_20
.LBB18_19:                              ;   in Loop: Header=BB18_20 Depth=1
	s_or_b64 exec, exec, s[12:13]
	s_add_i32 s10, s10, 64
	s_cmp_ge_i32 s10, s20
	s_cbranch_scc1 .LBB18_37
.LBB18_20:                              ; =>This Loop Header: Depth=1
                                        ;     Child Loop BB18_22 Depth 2
                                        ;     Child Loop BB18_36 Depth 2
	s_ashr_i32 s11, s10, 31
	s_lshl_b64 s[12:13], s[10:11], 2
	s_add_u32 s11, s18, s12
	s_addc_u32 s23, s19, s13
	v_mov_b32_e32 v12, 0
	s_and_saveexec_b64 s[12:13], s[0:1]
	s_cbranch_execz .LBB18_24
; %bb.21:                               ;   in Loop: Header=BB18_20 Depth=1
	s_mov_b64 s[14:15], 0
	v_mov_b32_e32 v12, 0
	v_mov_b32_e32 v13, s23
	;; [unrolled: 1-line block ×5, first 2 shown]
.LBB18_22:                              ;   Parent Loop BB18_20 Depth=1
                                        ; =>  This Inner Loop Header: Depth=2
	v_ashrrev_i32_e32 v3, 31, v2
	v_lshlrev_b64 v[16:17], 2, v[2:3]
	v_add_co_u32_e32 v16, vcc, s11, v16
	v_addc_co_u32_e32 v17, vcc, v13, v17, vcc
	global_load_dword v3, v[16:17], off
	ds_read_b32 v16, v14
	v_add_u32_e32 v15, 0x200, v15
	v_cmp_le_i32_e32 vcc, s21, v15
	v_add_u32_e32 v14, 0x800, v14
	v_add_u32_e32 v2, s22, v2
	s_or_b64 s[14:15], vcc, s[14:15]
	s_waitcnt vmcnt(0) lgkmcnt(0)
	v_mul_f32_e32 v3, v16, v3
	v_add_f32_e32 v12, v12, v3
	s_andn2_b64 exec, exec, s[14:15]
	s_cbranch_execnz .LBB18_22
; %bb.23:                               ;   in Loop: Header=BB18_20 Depth=1
	s_or_b64 exec, exec, s[14:15]
.LBB18_24:                              ;   in Loop: Header=BB18_20 Depth=1
	s_or_b64 exec, exec, s[12:13]
	s_and_b64 vcc, exec, s[8:9]
	s_cbranch_vccz .LBB18_31
; %bb.25:                               ;   in Loop: Header=BB18_20 Depth=1
	v_cmp_ne_u32_e32 vcc, 63, v11
	v_addc_co_u32_e32 v2, vcc, 0, v10, vcc
	v_lshlrev_b32_e32 v2, 2, v2
	ds_bpermute_b32 v2, v2, v12
	v_cmp_gt_u32_e32 vcc, 62, v11
	v_cndmask_b32_e64 v3, 0, 1, vcc
	v_lshlrev_b32_e32 v3, 1, v3
	v_add_lshl_u32 v3, v3, v10, 2
	s_waitcnt lgkmcnt(0)
	v_add_f32_e32 v2, v12, v2
	ds_bpermute_b32 v3, v3, v2
	v_cmp_gt_u32_e32 vcc, 60, v11
	v_cndmask_b32_e64 v13, 0, 1, vcc
	v_cmp_gt_u32_e32 vcc, 56, v11
	s_waitcnt lgkmcnt(0)
	v_add_f32_e32 v2, v2, v3
	v_lshlrev_b32_e32 v3, 2, v13
	v_add_lshl_u32 v3, v3, v10, 2
	ds_bpermute_b32 v3, v3, v2
	v_cndmask_b32_e64 v13, 0, 1, vcc
	v_cmp_gt_u32_e32 vcc, 48, v11
	s_waitcnt lgkmcnt(0)
	v_add_f32_e32 v2, v2, v3
	v_lshlrev_b32_e32 v3, 3, v13
	v_add_lshl_u32 v3, v3, v10, 2
	ds_bpermute_b32 v3, v3, v2
	;; [unrolled: 7-line block ×3, first 2 shown]
	v_cndmask_b32_e64 v13, 0, 1, vcc
	s_waitcnt lgkmcnt(0)
	v_add_f32_e32 v2, v2, v3
	v_lshlrev_b32_e32 v3, 5, v13
	v_add_lshl_u32 v3, v3, v10, 2
	ds_bpermute_b32 v3, v3, v2
	s_waitcnt lgkmcnt(0)
	v_add_f32_e32 v2, v2, v3
	s_and_saveexec_b64 s[12:13], s[2:3]
	s_cbranch_execz .LBB18_27
; %bb.26:                               ;   in Loop: Header=BB18_20 Depth=1
	ds_write_b32 v1, v2 offset:8192
.LBB18_27:                              ;   in Loop: Header=BB18_20 Depth=1
	s_or_b64 exec, exec, s[12:13]
	s_mov_b64 s[14:15], 0
	s_mov_b64 s[12:13], 0
	s_waitcnt lgkmcnt(0)
	s_barrier
	s_waitcnt lgkmcnt(0)
                                        ; implicit-def: $vgpr3
	s_and_saveexec_b64 s[16:17], s[4:5]
	s_xor_b64 s[16:17], exec, s[16:17]
	s_cbranch_execz .LBB18_29
; %bb.28:                               ;   in Loop: Header=BB18_20 Depth=1
	ds_read2_b32 v[14:15], v6 offset1:1
	ds_read2_b32 v[16:17], v7 offset1:1
	;; [unrolled: 1-line block ×3, first 2 shown]
	ds_read_b32 v3, v9 offset:8220
	s_mov_b64 s[12:13], exec
	s_waitcnt lgkmcnt(3)
	v_add_f32_e32 v2, v2, v14
	v_add_f32_e32 v2, v2, v15
	s_waitcnt lgkmcnt(2)
	v_add_f32_e32 v2, v2, v16
	v_add_f32_e32 v2, v2, v17
	;; [unrolled: 3-line block ×3, first 2 shown]
	s_waitcnt lgkmcnt(0)
	v_add_f32_e32 v3, v2, v3
.LBB18_29:                              ;   in Loop: Header=BB18_20 Depth=1
	s_or_b64 exec, exec, s[16:17]
	s_and_b64 vcc, exec, s[14:15]
	s_cbranch_vccnz .LBB18_32
.LBB18_30:                              ;   in Loop: Header=BB18_20 Depth=1
	v_mov_b32_e32 v12, v3
	s_and_saveexec_b64 s[14:15], s[12:13]
	s_cbranch_execnz .LBB18_33
	s_branch .LBB18_34
.LBB18_31:                              ;   in Loop: Header=BB18_20 Depth=1
	s_mov_b64 s[12:13], 0
                                        ; implicit-def: $vgpr3
	s_cbranch_execz .LBB18_30
.LBB18_32:                              ;   in Loop: Header=BB18_20 Depth=1
	s_andn2_b64 s[12:13], s[12:13], exec
	s_and_b64 s[14:15], s[4:5], exec
	s_or_b64 s[12:13], s[12:13], s[14:15]
	s_and_saveexec_b64 s[14:15], s[12:13]
	s_cbranch_execz .LBB18_34
.LBB18_33:                              ;   in Loop: Header=BB18_20 Depth=1
	ds_write_b32 v9, v12 offset:8192
.LBB18_34:                              ;   in Loop: Header=BB18_20 Depth=1
	s_or_b64 exec, exec, s[14:15]
	s_waitcnt lgkmcnt(0)
	s_barrier
	s_and_saveexec_b64 s[12:13], s[0:1]
	s_cbranch_execz .LBB18_19
; %bb.35:                               ;   in Loop: Header=BB18_20 Depth=1
	global_load_dword v3, v9, s[6:7]
	ds_read_b32 v14, v9 offset:8192
	s_mov_b64 s[14:15], 0
	v_mov_b32_e32 v12, s23
	v_mov_b32_e32 v13, v4
	v_mov_b32_e32 v2, v5
	v_mov_b32_e32 v15, v0
	s_waitcnt vmcnt(0) lgkmcnt(0)
	v_mul_f32_e64 v14, v14, -v3
.LBB18_36:                              ;   Parent Loop BB18_20 Depth=1
                                        ; =>  This Inner Loop Header: Depth=2
	v_ashrrev_i32_e32 v3, 31, v2
	v_lshlrev_b64 v[16:17], 2, v[2:3]
	v_add_co_u32_e32 v16, vcc, s11, v16
	v_addc_co_u32_e32 v17, vcc, v12, v17, vcc
	global_load_dword v3, v[16:17], off
	ds_read_b32 v18, v13
	v_add_u32_e32 v15, 0x200, v15
	v_cmp_le_i32_e32 vcc, s21, v15
	v_add_u32_e32 v13, 0x800, v13
	v_add_u32_e32 v2, s22, v2
	s_or_b64 s[14:15], vcc, s[14:15]
	s_waitcnt vmcnt(0) lgkmcnt(0)
	v_fmac_f32_e32 v3, v14, v18
	global_store_dword v[16:17], v3, off
	s_andn2_b64 exec, exec, s[14:15]
	s_cbranch_execnz .LBB18_36
	s_branch .LBB18_19
.LBB18_37:
	s_endpgm
	.section	.rodata,"a",@progbits
	.p2align	6, 0x0
	.amdhsa_kernel _ZN9rocsolver6v33100L23larf_right_kernel_smallILi512EfiPKPfEEvT1_S5_T2_lS5_lPKT0_lS6_lS5_l
		.amdhsa_group_segment_fixed_size 8224
		.amdhsa_private_segment_fixed_size 0
		.amdhsa_kernarg_size 88
		.amdhsa_user_sgpr_count 6
		.amdhsa_user_sgpr_private_segment_buffer 1
		.amdhsa_user_sgpr_dispatch_ptr 0
		.amdhsa_user_sgpr_queue_ptr 0
		.amdhsa_user_sgpr_kernarg_segment_ptr 1
		.amdhsa_user_sgpr_dispatch_id 0
		.amdhsa_user_sgpr_flat_scratch_init 0
		.amdhsa_user_sgpr_kernarg_preload_length 0
		.amdhsa_user_sgpr_kernarg_preload_offset 0
		.amdhsa_user_sgpr_private_segment_size 0
		.amdhsa_uses_dynamic_stack 0
		.amdhsa_system_sgpr_private_segment_wavefront_offset 0
		.amdhsa_system_sgpr_workgroup_id_x 1
		.amdhsa_system_sgpr_workgroup_id_y 1
		.amdhsa_system_sgpr_workgroup_id_z 0
		.amdhsa_system_sgpr_workgroup_info 0
		.amdhsa_system_vgpr_workitem_id 0
		.amdhsa_next_free_vgpr 33
		.amdhsa_next_free_sgpr 34
		.amdhsa_accum_offset 36
		.amdhsa_reserve_vcc 1
		.amdhsa_reserve_flat_scratch 0
		.amdhsa_float_round_mode_32 0
		.amdhsa_float_round_mode_16_64 0
		.amdhsa_float_denorm_mode_32 3
		.amdhsa_float_denorm_mode_16_64 3
		.amdhsa_dx10_clamp 1
		.amdhsa_ieee_mode 1
		.amdhsa_fp16_overflow 0
		.amdhsa_tg_split 0
		.amdhsa_exception_fp_ieee_invalid_op 0
		.amdhsa_exception_fp_denorm_src 0
		.amdhsa_exception_fp_ieee_div_zero 0
		.amdhsa_exception_fp_ieee_overflow 0
		.amdhsa_exception_fp_ieee_underflow 0
		.amdhsa_exception_fp_ieee_inexact 0
		.amdhsa_exception_int_div_zero 0
	.end_amdhsa_kernel
	.section	.text._ZN9rocsolver6v33100L23larf_right_kernel_smallILi512EfiPKPfEEvT1_S5_T2_lS5_lPKT0_lS6_lS5_l,"axG",@progbits,_ZN9rocsolver6v33100L23larf_right_kernel_smallILi512EfiPKPfEEvT1_S5_T2_lS5_lPKT0_lS6_lS5_l,comdat
.Lfunc_end18:
	.size	_ZN9rocsolver6v33100L23larf_right_kernel_smallILi512EfiPKPfEEvT1_S5_T2_lS5_lPKT0_lS6_lS5_l, .Lfunc_end18-_ZN9rocsolver6v33100L23larf_right_kernel_smallILi512EfiPKPfEEvT1_S5_T2_lS5_lPKT0_lS6_lS5_l
                                        ; -- End function
	.section	.AMDGPU.csdata,"",@progbits
; Kernel info:
; codeLenInByte = 2176
; NumSgprs: 38
; NumVgprs: 33
; NumAgprs: 0
; TotalNumVgprs: 33
; ScratchSize: 0
; MemoryBound: 0
; FloatMode: 240
; IeeeMode: 1
; LDSByteSize: 8224 bytes/workgroup (compile time only)
; SGPRBlocks: 4
; VGPRBlocks: 4
; NumSGPRsForWavesPerEU: 38
; NumVGPRsForWavesPerEU: 33
; AccumOffset: 36
; Occupancy: 8
; WaveLimiterHint : 1
; COMPUTE_PGM_RSRC2:SCRATCH_EN: 0
; COMPUTE_PGM_RSRC2:USER_SGPR: 6
; COMPUTE_PGM_RSRC2:TRAP_HANDLER: 0
; COMPUTE_PGM_RSRC2:TGID_X_EN: 1
; COMPUTE_PGM_RSRC2:TGID_Y_EN: 1
; COMPUTE_PGM_RSRC2:TGID_Z_EN: 0
; COMPUTE_PGM_RSRC2:TIDIG_COMP_CNT: 0
; COMPUTE_PGM_RSRC3_GFX90A:ACCUM_OFFSET: 8
; COMPUTE_PGM_RSRC3_GFX90A:TG_SPLIT: 0
	.section	.text._ZN9rocsolver6v33100L23larf_right_kernel_smallILi1024EfiPKPfEEvT1_S5_T2_lS5_lPKT0_lS6_lS5_l,"axG",@progbits,_ZN9rocsolver6v33100L23larf_right_kernel_smallILi1024EfiPKPfEEvT1_S5_T2_lS5_lPKT0_lS6_lS5_l,comdat
	.globl	_ZN9rocsolver6v33100L23larf_right_kernel_smallILi1024EfiPKPfEEvT1_S5_T2_lS5_lPKT0_lS6_lS5_l ; -- Begin function _ZN9rocsolver6v33100L23larf_right_kernel_smallILi1024EfiPKPfEEvT1_S5_T2_lS5_lPKT0_lS6_lS5_l
	.p2align	8
	.type	_ZN9rocsolver6v33100L23larf_right_kernel_smallILi1024EfiPKPfEEvT1_S5_T2_lS5_lPKT0_lS6_lS5_l,@function
_ZN9rocsolver6v33100L23larf_right_kernel_smallILi1024EfiPKPfEEvT1_S5_T2_lS5_lPKT0_lS6_lS5_l: ; @_ZN9rocsolver6v33100L23larf_right_kernel_smallILi1024EfiPKPfEEvT1_S5_T2_lS5_lPKT0_lS6_lS5_l
; %bb.0:
	s_load_dwordx8 s[12:19], s[4:5], 0x28
	s_load_dwordx2 s[20:21], s[4:5], 0x0
	s_mov_b32 s10, s7
	s_ashr_i32 s7, s6, 31
	s_lshl_b64 s[2:3], s[6:7], 3
	s_waitcnt lgkmcnt(0)
	s_add_u32 s0, s16, s2
	s_addc_u32 s1, s17, s3
	s_load_dwordx2 s[16:17], s[0:1], 0x0
	v_cmp_gt_i32_e64 s[0:1], s21, v0
	s_and_saveexec_b64 s[22:23], s[0:1]
	s_cbranch_execz .LBB19_17
; %bb.1:
	s_load_dwordx4 s[24:27], s[4:5], 0x8
	s_load_dword s28, s[4:5], 0x18
	v_xad_u32 v2, v0, -1, s21
	s_movk_i32 s8, 0x5bff
	v_cmp_lt_u32_e32 vcc, s8, v2
	s_waitcnt lgkmcnt(0)
	s_add_u32 s2, s24, s2
	s_addc_u32 s3, s25, s3
	s_load_dwordx2 s[2:3], s[2:3], 0x0
	s_lshl_b64 s[8:9], s[26:27], 2
                                        ; implicit-def: $vgpr1
                                        ; implicit-def: $sgpr31
	s_waitcnt lgkmcnt(0)
	s_add_u32 s11, s2, s8
	s_addc_u32 s29, s3, s9
	s_sub_i32 s2, 1, s21
	s_mul_i32 s2, s2, s28
	s_cmp_lt_i32 s28, 1
	s_cselect_b32 s30, s2, 0
	s_mov_b64 s[2:3], 0
	s_and_saveexec_b64 s[8:9], vcc
	s_xor_b64 s[24:25], exec, s[8:9]
	s_cbranch_execnz .LBB19_4
; %bb.2:
	s_or_saveexec_b64 s[8:9], s[24:25]
	v_mov_b32_e32 v4, s31
	s_xor_b64 exec, exec, s[8:9]
	s_cbranch_execnz .LBB19_14
.LBB19_3:
	s_or_b64 exec, exec, s[8:9]
	s_and_b64 exec, exec, s[2:3]
	s_cbranch_execnz .LBB19_15
	s_branch .LBB19_17
.LBB19_4:
	s_lshl_b32 s31, s28, 10
	s_sub_i32 s8, 0, s31
	s_cmp_lt_i32 s31, 0
	s_cselect_b64 vcc, -1, 0
	s_and_b64 s[2:3], vcc, exec
	v_lshrrev_b32_e32 v4, 10, v2
	s_cselect_b32 s8, s8, s31
	v_mul_lo_u32 v1, v0, s28
	v_mul_hi_u32 v2, s8, v4
	v_add_u32_e32 v1, s30, v1
	v_cmp_eq_u32_e64 s[2:3], 0, v2
	v_mul_lo_u32 v2, s8, v4
	v_add_u32_e32 v3, v1, v2
	v_sub_u32_e32 v2, v1, v2
	v_cmp_gt_i32_e64 s[8:9], v2, v1
	v_cndmask_b32_e64 v2, 0, 1, s[8:9]
	v_cmp_lt_i32_e64 s[8:9], v3, v1
	v_cndmask_b32_e64 v1, 0, 1, s[8:9]
	v_cndmask_b32_e32 v1, v1, v2, vcc
	v_and_b32_e32 v1, 1, v1
	v_cmp_eq_u32_e32 vcc, 1, v1
	s_xor_b64 s[26:27], vcc, -1
	s_mov_b64 s[8:9], -1
	s_and_b64 s[26:27], s[26:27], s[2:3]
	v_mov_b32_e32 v1, v0
	s_and_saveexec_b64 s[2:3], s[26:27]
	s_cbranch_execz .LBB19_13
; %bb.5:
	v_add_u32_e32 v2, -1, v4
	v_or_b32_e32 v1, 0x400, v0
	v_lshrrev_b32_e32 v3, 1, v2
	v_add_u32_e32 v5, 1, v3
	v_cmp_lt_u32_e32 vcc, 5, v2
	v_mov_b32_e32 v9, 0
	v_pk_mov_b32 v[2:3], v[0:1], v[0:1] op_sel:[0,1]
	s_and_saveexec_b64 s[8:9], vcc
	s_cbranch_execz .LBB19_9
; %bb.6:
	v_and_b32_e32 v6, -4, v5
	v_lshlrev_b32_e32 v7, 2, v0
	s_mov_b32 s33, 0
	s_mov_b64 s[26:27], 0
	v_mov_b32_e32 v8, s29
	v_pk_mov_b32 v[2:3], v[0:1], v[0:1] op_sel:[0,1]
.LBB19_7:                               ; =>This Inner Loop Header: Depth=1
	v_mul_lo_u32 v9, v2, s28
	v_add_u32_e32 v11, 0x800, v2
	v_add_u32_e32 v10, s30, v9
	v_mul_lo_u32 v1, v3, s28
	v_mul_lo_u32 v9, v11, s28
	v_ashrrev_i32_e32 v11, 31, v10
	v_add_u32_e32 v13, 0x800, v3
	v_add_u32_e32 v12, s30, v1
	v_lshlrev_b64 v[10:11], 2, v[10:11]
	v_add_u32_e32 v14, 0x1000, v2
	v_add_u32_e32 v15, 0x1000, v3
	v_mul_lo_u32 v1, v13, s28
	v_ashrrev_i32_e32 v13, 31, v12
	v_add_co_u32_e32 v10, vcc, s11, v10
	v_mul_lo_u32 v15, v15, s28
	v_mul_lo_u32 v18, v14, s28
	v_add_u32_e32 v14, s30, v9
	v_lshlrev_b64 v[12:13], 2, v[12:13]
	v_addc_co_u32_e32 v11, vcc, v8, v11, vcc
	v_add_u32_e32 v16, 0x1800, v2
	v_add_u32_e32 v17, 0x1800, v3
	;; [unrolled: 1-line block ×3, first 2 shown]
	v_ashrrev_i32_e32 v15, 31, v14
	v_add_co_u32_e32 v12, vcc, s11, v12
	v_mul_lo_u32 v17, v17, s28
	v_mul_lo_u32 v19, v16, s28
	v_add_u32_e32 v16, s30, v1
	v_addc_co_u32_e32 v13, vcc, v8, v13, vcc
	v_lshlrev_b64 v[14:15], 2, v[14:15]
	v_add_u32_e32 v24, s30, v17
	v_ashrrev_i32_e32 v17, 31, v16
	v_add_co_u32_e32 v14, vcc, s11, v14
	v_add_u32_e32 v18, s30, v18
	v_lshlrev_b64 v[16:17], 2, v[16:17]
	v_addc_co_u32_e32 v15, vcc, v8, v15, vcc
	v_add_u32_e32 v22, s30, v19
	v_ashrrev_i32_e32 v19, 31, v18
	v_add_co_u32_e32 v16, vcc, s11, v16
	v_lshlrev_b64 v[18:19], 2, v[18:19]
	v_addc_co_u32_e32 v17, vcc, v8, v17, vcc
	v_ashrrev_i32_e32 v21, 31, v20
	v_add_co_u32_e32 v18, vcc, s11, v18
	v_lshlrev_b64 v[20:21], 2, v[20:21]
	v_addc_co_u32_e32 v19, vcc, v8, v19, vcc
	;; [unrolled: 4-line block ×4, first 2 shown]
	v_add_co_u32_e32 v24, vcc, s11, v24
	v_addc_co_u32_e32 v25, vcc, v8, v25, vcc
	global_load_dword v1, v[10:11], off
	global_load_dword v26, v[12:13], off
	;; [unrolled: 1-line block ×8, first 2 shown]
	v_add_u32_e32 v6, -4, v6
	s_add_i32 s33, s33, 8
	v_cmp_eq_u32_e32 vcc, 0, v6
	v_add_u32_e32 v3, 0x2000, v3
	v_add_u32_e32 v2, 0x2000, v2
	v_mov_b32_e32 v9, s33
	s_or_b64 s[26:27], vcc, s[26:27]
	s_waitcnt vmcnt(6)
	ds_write2st64_b32 v7, v1, v26 offset1:16
	s_waitcnt vmcnt(4)
	ds_write2st64_b32 v7, v27, v28 offset0:32 offset1:48
	s_waitcnt vmcnt(2)
	ds_write2st64_b32 v7, v29, v30 offset0:64 offset1:80
	;; [unrolled: 2-line block ×3, first 2 shown]
	v_add_u32_e32 v7, 0x8000, v7
	s_andn2_b64 exec, exec, s[26:27]
	s_cbranch_execnz .LBB19_7
; %bb.8:
	s_or_b64 exec, exec, s[26:27]
.LBB19_9:
	s_or_b64 exec, exec, s[8:9]
	v_and_b32_e32 v1, 3, v5
	v_cmp_ne_u32_e32 vcc, 0, v1
	s_and_saveexec_b64 s[8:9], vcc
	s_cbranch_execz .LBB19_12
; %bb.10:
	v_lshlrev_b32_e32 v5, 2, v0
	v_lshl_or_b32 v5, v9, 12, v5
	s_mov_b64 s[26:27], 0
	v_mov_b32_e32 v6, s29
.LBB19_11:                              ; =>This Inner Loop Header: Depth=1
	v_mul_lo_u32 v8, v2, s28
	v_add_u32_e32 v8, s30, v8
	v_mul_lo_u32 v7, v3, s28
	v_ashrrev_i32_e32 v9, 31, v8
	v_add_u32_e32 v10, s30, v7
	v_lshlrev_b64 v[8:9], 2, v[8:9]
	v_ashrrev_i32_e32 v11, 31, v10
	v_add_co_u32_e32 v8, vcc, s11, v8
	v_lshlrev_b64 v[10:11], 2, v[10:11]
	v_addc_co_u32_e32 v9, vcc, v6, v9, vcc
	v_add_co_u32_e32 v10, vcc, s11, v10
	v_addc_co_u32_e32 v11, vcc, v6, v11, vcc
	global_load_dword v7, v[8:9], off
	global_load_dword v12, v[10:11], off
	v_add_u32_e32 v1, -1, v1
	v_cmp_eq_u32_e32 vcc, 0, v1
	v_add_u32_e32 v3, 0x800, v3
	v_add_u32_e32 v2, 0x800, v2
	s_or_b64 s[26:27], vcc, s[26:27]
	s_waitcnt vmcnt(0)
	ds_write2st64_b32 v5, v7, v12 offset1:16
	v_add_u32_e32 v5, 0x2000, v5
	s_andn2_b64 exec, exec, s[26:27]
	s_cbranch_execnz .LBB19_11
.LBB19_12:
	s_or_b64 exec, exec, s[8:9]
	v_add_u32_e32 v2, 1, v4
	v_and_b32_e32 v3, 0x7ffffe, v2
	v_cmp_ne_u32_e32 vcc, v2, v3
	v_lshl_or_b32 v1, v3, 10, v0
	s_orn2_b64 s[8:9], vcc, exec
.LBB19_13:
	s_or_b64 exec, exec, s[2:3]
	s_and_b64 s[2:3], s[8:9], exec
	s_or_saveexec_b64 s[8:9], s[24:25]
	v_mov_b32_e32 v4, s31
	s_xor_b64 exec, exec, s[8:9]
	s_cbranch_execz .LBB19_3
.LBB19_14:
	s_lshl_b32 s24, s28, 10
	v_mov_b32_e32 v4, s24
	s_or_b64 s[2:3], s[2:3], exec
	v_mov_b32_e32 v1, v0
	s_or_b64 exec, exec, s[8:9]
	s_and_b64 exec, exec, s[2:3]
	s_cbranch_execz .LBB19_17
.LBB19_15:
	v_mul_lo_u32 v2, v1, s28
	v_add_u32_e32 v2, s30, v2
	v_lshlrev_b32_e32 v5, 2, v1
	s_mov_b64 s[2:3], 0
	v_mov_b32_e32 v6, s29
.LBB19_16:                              ; =>This Inner Loop Header: Depth=1
	v_ashrrev_i32_e32 v3, 31, v2
	v_lshlrev_b64 v[8:9], 2, v[2:3]
	v_add_co_u32_e32 v8, vcc, s11, v8
	v_addc_co_u32_e32 v9, vcc, v6, v9, vcc
	global_load_dword v3, v[8:9], off
	v_add_u32_e32 v1, 0x400, v1
	v_cmp_le_i32_e32 vcc, s21, v1
	v_add_u32_e32 v2, v2, v4
	s_or_b64 s[2:3], vcc, s[2:3]
	s_waitcnt vmcnt(0)
	ds_write_b32 v5, v3
	v_add_u32_e32 v5, 0x1000, v5
	s_andn2_b64 exec, exec, s[2:3]
	s_cbranch_execnz .LBB19_16
.LBB19_17:
	s_or_b64 exec, exec, s[22:23]
	s_cmp_ge_i32 s10, s20
	s_waitcnt lgkmcnt(0)
	s_barrier
	s_cbranch_scc1 .LBB19_37
; %bb.18:
	s_lshl_b64 s[2:3], s[18:19], 2
	s_add_u32 s18, s16, s2
	s_addc_u32 s19, s17, s3
	s_mul_i32 s2, s6, s15
	s_mul_hi_u32 s3, s6, s14
	s_add_i32 s2, s3, s2
	s_mul_i32 s3, s7, s14
	s_load_dword s11, s[4:5], 0x48
	s_add_i32 s3, s2, s3
	s_mul_i32 s2, s6, s14
	s_lshl_b64 s[2:3], s[2:3], 2
	s_add_u32 s6, s12, s2
	s_addc_u32 s7, s13, s3
	v_mbcnt_lo_u32_b32 v2, -1, 0
	s_cmp_gt_i32 s21, 1
	v_and_b32_e32 v1, 63, v0
	v_mbcnt_hi_u32_b32 v14, -1, v2
	s_cselect_b64 s[8:9], -1, 0
	v_cmp_eq_u32_e64 s[2:3], 0, v1
	v_lshrrev_b32_e32 v1, 4, v0
	v_cmp_eq_u32_e64 s[4:5], 0, v0
	v_lshlrev_b32_e32 v4, 2, v0
	s_waitcnt lgkmcnt(0)
	v_mul_lo_u32 v5, v0, s11
	s_lshl_b32 s22, s11, 10
	v_mov_b32_e32 v6, 0x2004
	v_mov_b32_e32 v7, 0x200c
	;; [unrolled: 1-line block ×8, first 2 shown]
	v_and_b32_e32 v15, 63, v14
	s_branch .LBB19_20
.LBB19_19:                              ;   in Loop: Header=BB19_20 Depth=1
	s_or_b64 exec, exec, s[12:13]
	s_add_i32 s10, s10, 64
	s_cmp_ge_i32 s10, s20
	s_cbranch_scc1 .LBB19_37
.LBB19_20:                              ; =>This Loop Header: Depth=1
                                        ;     Child Loop BB19_22 Depth 2
                                        ;     Child Loop BB19_36 Depth 2
	s_ashr_i32 s11, s10, 31
	s_lshl_b64 s[12:13], s[10:11], 2
	s_add_u32 s11, s18, s12
	s_addc_u32 s23, s19, s13
	v_mov_b32_e32 v16, 0
	s_and_saveexec_b64 s[12:13], s[0:1]
	s_cbranch_execz .LBB19_24
; %bb.21:                               ;   in Loop: Header=BB19_20 Depth=1
	s_mov_b64 s[14:15], 0
	v_mov_b32_e32 v16, 0
	v_mov_b32_e32 v17, s23
	;; [unrolled: 1-line block ×5, first 2 shown]
.LBB19_22:                              ;   Parent Loop BB19_20 Depth=1
                                        ; =>  This Inner Loop Header: Depth=2
	v_ashrrev_i32_e32 v3, 31, v2
	v_lshlrev_b64 v[20:21], 2, v[2:3]
	v_add_co_u32_e32 v20, vcc, s11, v20
	v_addc_co_u32_e32 v21, vcc, v17, v21, vcc
	global_load_dword v3, v[20:21], off
	ds_read_b32 v20, v18
	v_add_u32_e32 v19, 0x400, v19
	v_cmp_le_i32_e32 vcc, s21, v19
	v_add_u32_e32 v18, 0x1000, v18
	v_add_u32_e32 v2, s22, v2
	s_or_b64 s[14:15], vcc, s[14:15]
	s_waitcnt vmcnt(0) lgkmcnt(0)
	v_mul_f32_e32 v3, v20, v3
	v_add_f32_e32 v16, v16, v3
	s_andn2_b64 exec, exec, s[14:15]
	s_cbranch_execnz .LBB19_22
; %bb.23:                               ;   in Loop: Header=BB19_20 Depth=1
	s_or_b64 exec, exec, s[14:15]
.LBB19_24:                              ;   in Loop: Header=BB19_20 Depth=1
	s_or_b64 exec, exec, s[12:13]
	s_and_b64 vcc, exec, s[8:9]
	s_cbranch_vccz .LBB19_31
; %bb.25:                               ;   in Loop: Header=BB19_20 Depth=1
	v_cmp_ne_u32_e32 vcc, 63, v15
	v_addc_co_u32_e32 v2, vcc, 0, v14, vcc
	v_lshlrev_b32_e32 v2, 2, v2
	ds_bpermute_b32 v2, v2, v16
	v_cmp_gt_u32_e32 vcc, 62, v15
	v_cndmask_b32_e64 v3, 0, 1, vcc
	v_lshlrev_b32_e32 v3, 1, v3
	v_add_lshl_u32 v3, v3, v14, 2
	s_waitcnt lgkmcnt(0)
	v_add_f32_e32 v2, v16, v2
	ds_bpermute_b32 v3, v3, v2
	v_cmp_gt_u32_e32 vcc, 60, v15
	v_cndmask_b32_e64 v17, 0, 1, vcc
	v_cmp_gt_u32_e32 vcc, 56, v15
	s_waitcnt lgkmcnt(0)
	v_add_f32_e32 v2, v2, v3
	v_lshlrev_b32_e32 v3, 2, v17
	v_add_lshl_u32 v3, v3, v14, 2
	ds_bpermute_b32 v3, v3, v2
	v_cndmask_b32_e64 v17, 0, 1, vcc
	v_cmp_gt_u32_e32 vcc, 48, v15
	s_waitcnt lgkmcnt(0)
	v_add_f32_e32 v2, v2, v3
	v_lshlrev_b32_e32 v3, 3, v17
	v_add_lshl_u32 v3, v3, v14, 2
	ds_bpermute_b32 v3, v3, v2
	;; [unrolled: 7-line block ×3, first 2 shown]
	v_cndmask_b32_e64 v17, 0, 1, vcc
	s_waitcnt lgkmcnt(0)
	v_add_f32_e32 v2, v2, v3
	v_lshlrev_b32_e32 v3, 5, v17
	v_add_lshl_u32 v3, v3, v14, 2
	ds_bpermute_b32 v3, v3, v2
	s_waitcnt lgkmcnt(0)
	v_add_f32_e32 v2, v2, v3
	s_and_saveexec_b64 s[12:13], s[2:3]
	s_cbranch_execz .LBB19_27
; %bb.26:                               ;   in Loop: Header=BB19_20 Depth=1
	ds_write_b32 v1, v2 offset:8192
.LBB19_27:                              ;   in Loop: Header=BB19_20 Depth=1
	s_or_b64 exec, exec, s[12:13]
	s_mov_b64 s[14:15], 0
	s_mov_b64 s[12:13], 0
	s_waitcnt lgkmcnt(0)
	s_barrier
	s_waitcnt lgkmcnt(0)
                                        ; implicit-def: $vgpr3
	s_and_saveexec_b64 s[16:17], s[4:5]
	s_xor_b64 s[16:17], exec, s[16:17]
	s_cbranch_execz .LBB19_29
; %bb.28:                               ;   in Loop: Header=BB19_20 Depth=1
	ds_read2_b32 v[18:19], v6 offset1:1
	ds_read2_b32 v[20:21], v7 offset1:1
	;; [unrolled: 1-line block ×4, first 2 shown]
	s_mov_b64 s[12:13], exec
	s_waitcnt lgkmcnt(3)
	v_add_f32_e32 v2, v2, v18
	v_add_f32_e32 v2, v2, v19
	s_waitcnt lgkmcnt(2)
	v_add_f32_e32 v2, v2, v20
	v_add_f32_e32 v2, v2, v21
	;; [unrolled: 3-line block ×3, first 2 shown]
	s_waitcnt lgkmcnt(0)
	v_add_f32_e32 v17, v2, v24
	ds_read2_b32 v[2:3], v10 offset1:1
	v_add_f32_e32 v17, v17, v25
	ds_read2_b32 v[18:19], v11 offset1:1
	ds_read2_b32 v[20:21], v12 offset1:1
	ds_read_b32 v22, v13 offset:8252
	s_waitcnt lgkmcnt(3)
	v_add_f32_e32 v2, v17, v2
	v_add_f32_e32 v2, v2, v3
	s_waitcnt lgkmcnt(2)
	v_add_f32_e32 v2, v2, v18
	v_add_f32_e32 v2, v2, v19
	;; [unrolled: 3-line block ×3, first 2 shown]
	s_waitcnt lgkmcnt(0)
	v_add_f32_e32 v3, v2, v22
.LBB19_29:                              ;   in Loop: Header=BB19_20 Depth=1
	s_or_b64 exec, exec, s[16:17]
	s_and_b64 vcc, exec, s[14:15]
	s_cbranch_vccnz .LBB19_32
.LBB19_30:                              ;   in Loop: Header=BB19_20 Depth=1
	v_mov_b32_e32 v16, v3
	s_and_saveexec_b64 s[14:15], s[12:13]
	s_cbranch_execnz .LBB19_33
	s_branch .LBB19_34
.LBB19_31:                              ;   in Loop: Header=BB19_20 Depth=1
	s_mov_b64 s[12:13], 0
                                        ; implicit-def: $vgpr3
	s_cbranch_execz .LBB19_30
.LBB19_32:                              ;   in Loop: Header=BB19_20 Depth=1
	s_andn2_b64 s[12:13], s[12:13], exec
	s_and_b64 s[14:15], s[4:5], exec
	s_or_b64 s[12:13], s[12:13], s[14:15]
	s_and_saveexec_b64 s[14:15], s[12:13]
	s_cbranch_execz .LBB19_34
.LBB19_33:                              ;   in Loop: Header=BB19_20 Depth=1
	ds_write_b32 v13, v16 offset:8192
.LBB19_34:                              ;   in Loop: Header=BB19_20 Depth=1
	s_or_b64 exec, exec, s[14:15]
	s_waitcnt lgkmcnt(0)
	s_barrier
	s_and_saveexec_b64 s[12:13], s[0:1]
	s_cbranch_execz .LBB19_19
; %bb.35:                               ;   in Loop: Header=BB19_20 Depth=1
	global_load_dword v3, v13, s[6:7]
	ds_read_b32 v18, v13 offset:8192
	s_mov_b64 s[14:15], 0
	v_mov_b32_e32 v16, s23
	v_mov_b32_e32 v17, v4
	;; [unrolled: 1-line block ×4, first 2 shown]
	s_waitcnt vmcnt(0) lgkmcnt(0)
	v_mul_f32_e64 v18, v18, -v3
.LBB19_36:                              ;   Parent Loop BB19_20 Depth=1
                                        ; =>  This Inner Loop Header: Depth=2
	v_ashrrev_i32_e32 v3, 31, v2
	v_lshlrev_b64 v[20:21], 2, v[2:3]
	v_add_co_u32_e32 v20, vcc, s11, v20
	v_addc_co_u32_e32 v21, vcc, v16, v21, vcc
	global_load_dword v3, v[20:21], off
	ds_read_b32 v22, v17
	v_add_u32_e32 v19, 0x400, v19
	v_cmp_le_i32_e32 vcc, s21, v19
	v_add_u32_e32 v17, 0x1000, v17
	v_add_u32_e32 v2, s22, v2
	s_or_b64 s[14:15], vcc, s[14:15]
	s_waitcnt vmcnt(0) lgkmcnt(0)
	v_fmac_f32_e32 v3, v18, v22
	global_store_dword v[20:21], v3, off
	s_andn2_b64 exec, exec, s[14:15]
	s_cbranch_execnz .LBB19_36
	s_branch .LBB19_19
.LBB19_37:
	s_endpgm
	.section	.rodata,"a",@progbits
	.p2align	6, 0x0
	.amdhsa_kernel _ZN9rocsolver6v33100L23larf_right_kernel_smallILi1024EfiPKPfEEvT1_S5_T2_lS5_lPKT0_lS6_lS5_l
		.amdhsa_group_segment_fixed_size 8256
		.amdhsa_private_segment_fixed_size 0
		.amdhsa_kernarg_size 88
		.amdhsa_user_sgpr_count 6
		.amdhsa_user_sgpr_private_segment_buffer 1
		.amdhsa_user_sgpr_dispatch_ptr 0
		.amdhsa_user_sgpr_queue_ptr 0
		.amdhsa_user_sgpr_kernarg_segment_ptr 1
		.amdhsa_user_sgpr_dispatch_id 0
		.amdhsa_user_sgpr_flat_scratch_init 0
		.amdhsa_user_sgpr_kernarg_preload_length 0
		.amdhsa_user_sgpr_kernarg_preload_offset 0
		.amdhsa_user_sgpr_private_segment_size 0
		.amdhsa_uses_dynamic_stack 0
		.amdhsa_system_sgpr_private_segment_wavefront_offset 0
		.amdhsa_system_sgpr_workgroup_id_x 1
		.amdhsa_system_sgpr_workgroup_id_y 1
		.amdhsa_system_sgpr_workgroup_id_z 0
		.amdhsa_system_sgpr_workgroup_info 0
		.amdhsa_system_vgpr_workitem_id 0
		.amdhsa_next_free_vgpr 33
		.amdhsa_next_free_sgpr 34
		.amdhsa_accum_offset 36
		.amdhsa_reserve_vcc 1
		.amdhsa_reserve_flat_scratch 0
		.amdhsa_float_round_mode_32 0
		.amdhsa_float_round_mode_16_64 0
		.amdhsa_float_denorm_mode_32 3
		.amdhsa_float_denorm_mode_16_64 3
		.amdhsa_dx10_clamp 1
		.amdhsa_ieee_mode 1
		.amdhsa_fp16_overflow 0
		.amdhsa_tg_split 0
		.amdhsa_exception_fp_ieee_invalid_op 0
		.amdhsa_exception_fp_denorm_src 0
		.amdhsa_exception_fp_ieee_div_zero 0
		.amdhsa_exception_fp_ieee_overflow 0
		.amdhsa_exception_fp_ieee_underflow 0
		.amdhsa_exception_fp_ieee_inexact 0
		.amdhsa_exception_int_div_zero 0
	.end_amdhsa_kernel
	.section	.text._ZN9rocsolver6v33100L23larf_right_kernel_smallILi1024EfiPKPfEEvT1_S5_T2_lS5_lPKT0_lS6_lS5_l,"axG",@progbits,_ZN9rocsolver6v33100L23larf_right_kernel_smallILi1024EfiPKPfEEvT1_S5_T2_lS5_lPKT0_lS6_lS5_l,comdat
.Lfunc_end19:
	.size	_ZN9rocsolver6v33100L23larf_right_kernel_smallILi1024EfiPKPfEEvT1_S5_T2_lS5_lPKT0_lS6_lS5_l, .Lfunc_end19-_ZN9rocsolver6v33100L23larf_right_kernel_smallILi1024EfiPKPfEEvT1_S5_T2_lS5_lPKT0_lS6_lS5_l
                                        ; -- End function
	.section	.AMDGPU.csdata,"",@progbits
; Kernel info:
; codeLenInByte = 2288
; NumSgprs: 38
; NumVgprs: 33
; NumAgprs: 0
; TotalNumVgprs: 33
; ScratchSize: 0
; MemoryBound: 0
; FloatMode: 240
; IeeeMode: 1
; LDSByteSize: 8256 bytes/workgroup (compile time only)
; SGPRBlocks: 4
; VGPRBlocks: 4
; NumSGPRsForWavesPerEU: 38
; NumVGPRsForWavesPerEU: 33
; AccumOffset: 36
; Occupancy: 8
; WaveLimiterHint : 1
; COMPUTE_PGM_RSRC2:SCRATCH_EN: 0
; COMPUTE_PGM_RSRC2:USER_SGPR: 6
; COMPUTE_PGM_RSRC2:TRAP_HANDLER: 0
; COMPUTE_PGM_RSRC2:TGID_X_EN: 1
; COMPUTE_PGM_RSRC2:TGID_Y_EN: 1
; COMPUTE_PGM_RSRC2:TGID_Z_EN: 0
; COMPUTE_PGM_RSRC2:TIDIG_COMP_CNT: 0
; COMPUTE_PGM_RSRC3_GFX90A:ACCUM_OFFSET: 8
; COMPUTE_PGM_RSRC3_GFX90A:TG_SPLIT: 0
	.section	.text._ZN9rocsolver6v33100L22larf_left_kernel_smallILi64EflPfEEvT1_S3_T2_lS3_lPKT0_lS4_lS3_l,"axG",@progbits,_ZN9rocsolver6v33100L22larf_left_kernel_smallILi64EflPfEEvT1_S3_T2_lS3_lPKT0_lS4_lS3_l,comdat
	.globl	_ZN9rocsolver6v33100L22larf_left_kernel_smallILi64EflPfEEvT1_S3_T2_lS3_lPKT0_lS4_lS3_l ; -- Begin function _ZN9rocsolver6v33100L22larf_left_kernel_smallILi64EflPfEEvT1_S3_T2_lS3_lPKT0_lS4_lS3_l
	.p2align	8
	.type	_ZN9rocsolver6v33100L22larf_left_kernel_smallILi64EflPfEEvT1_S3_T2_lS3_lPKT0_lS4_lS3_l,@function
_ZN9rocsolver6v33100L22larf_left_kernel_smallILi64EflPfEEvT1_S3_T2_lS3_lPKT0_lS4_lS3_l: ; @_ZN9rocsolver6v33100L22larf_left_kernel_smallILi64EflPfEEvT1_S3_T2_lS3_lPKT0_lS4_lS3_l
; %bb.0:
	s_load_dwordx16 s[12:27], s[4:5], 0x0
	s_mov_b32 s10, s7
	s_mov_b64 s[28:29], 0
	s_waitcnt lgkmcnt(0)
	v_cmp_gt_i64_e64 s[0:1], s[20:21], 0
	s_and_b64 vcc, exec, s[0:1]
	s_cbranch_vccnz .LBB20_2
; %bb.1:
	s_sub_u32 s0, 1, s12
	s_subb_u32 s1, 0, s13
	s_mul_i32 s2, s0, s21
	s_mul_hi_u32 s3, s0, s20
	s_add_i32 s2, s3, s2
	s_mul_i32 s1, s1, s20
	s_add_i32 s29, s2, s1
	s_mul_i32 s28, s0, s20
.LBB20_2:
	v_mov_b32_e32 v1, 0
	s_mov_b32 s11, 0
	v_cmp_gt_i64_e64 s[0:1], s[12:13], v[0:1]
	v_not_b32_e32 v12, 0
	v_not_b32_e32 v13, v0
	s_and_saveexec_b64 s[8:9], s[0:1]
	s_cbranch_execz .LBB20_10
; %bb.3:
	v_mov_b32_e32 v2, s13
	v_add_co_u32_e32 v4, vcc, s12, v13
	s_mul_i32 s2, s6, s23
	s_mul_hi_u32 s3, s6, s22
	v_addc_co_u32_e32 v5, vcc, v12, v2, vcc
	s_add_i32 s23, s3, s2
	s_mul_i32 s22, s6, s22
	v_cmp_lt_u64_e32 vcc, 63, v[4:5]
	s_mov_b64 s[2:3], -1
	v_pk_mov_b32 v[2:3], v[0:1], v[0:1] op_sel:[0,1]
	s_and_saveexec_b64 s[30:31], vcc
	s_cbranch_execz .LBB20_7
; %bb.4:
	s_lshl_b64 s[2:3], s[22:23], 2
	s_add_u32 s7, s16, s2
	s_addc_u32 s33, s17, s3
	s_lshl_b64 s[2:3], s[18:19], 2
	s_add_u32 s7, s7, s2
	v_lshrrev_b64 v[2:3], 6, v[4:5]
	s_addc_u32 s33, s33, s3
	s_lshl_b64 s[2:3], s[28:29], 2
	v_add_co_u32_e32 v6, vcc, 1, v2
	s_add_u32 s7, s7, s2
	v_addc_co_u32_e32 v7, vcc, 0, v3, vcc
	v_or_b32_e32 v2, 64, v0
	v_mov_b32_e32 v3, v1
	s_addc_u32 s2, s33, s3
	v_and_b32_e32 v8, -2, v6
	v_mov_b32_e32 v9, v7
	v_pk_mov_b32 v[4:5], v[2:3], v[2:3] op_sel:[0,1]
	s_mov_b32 s33, s20
	s_mov_b32 s36, s21
	s_mov_b64 s[34:35], 0
	v_mov_b32_e32 v14, s2
	s_movk_i32 s37, 0x80
	v_pk_mov_b32 v[10:11], v[8:9], v[8:9] op_sel:[0,1]
	v_pk_mov_b32 v[2:3], v[0:1], v[0:1] op_sel:[0,1]
.LBB20_5:                               ; =>This Inner Loop Header: Depth=1
	v_mul_lo_u32 v21, v3, s20
	v_mul_lo_u32 v22, v2, s21
	v_mad_u64_u32 v[18:19], s[2:3], v2, s20, 0
	v_add3_u32 v19, v19, v22, v21
	v_mul_lo_u32 v15, v5, s33
	v_mul_lo_u32 v20, v4, s36
	v_mad_u64_u32 v[16:17], s[2:3], v4, s33, 0
	v_lshlrev_b64 v[18:19], 2, v[18:19]
	v_add3_u32 v17, v17, v20, v15
	v_add_co_u32_e32 v18, vcc, s7, v18
	v_lshlrev_b64 v[16:17], 2, v[16:17]
	v_addc_co_u32_e32 v19, vcc, v14, v19, vcc
	v_add_co_u32_e32 v16, vcc, s7, v16
	v_addc_co_u32_e32 v17, vcc, v14, v17, vcc
	global_load_dword v15, v[18:19], off
	global_load_dword v20, v[16:17], off
	v_lshlrev_b32_e32 v17, 2, v4
	v_add_co_u32_e32 v4, vcc, s37, v4
	v_add_co_u32_e64 v10, s[2:3], -2, v10
	v_addc_co_u32_e64 v11, s[2:3], -1, v11, s[2:3]
	v_addc_co_u32_e32 v5, vcc, 0, v5, vcc
	v_lshlrev_b32_e32 v16, 2, v2
	v_add_co_u32_e32 v2, vcc, 0x80, v2
	v_cmp_eq_u64_e64 s[2:3], 0, v[10:11]
	v_addc_co_u32_e32 v3, vcc, 0, v3, vcc
	s_or_b64 s[34:35], s[2:3], s[34:35]
	s_waitcnt vmcnt(1)
	ds_write_b32 v16, v15
	s_waitcnt vmcnt(0)
	ds_write_b32 v17, v20
	s_andn2_b64 exec, exec, s[34:35]
	s_cbranch_execnz .LBB20_5
; %bb.6:
	s_or_b64 exec, exec, s[34:35]
	v_lshlrev_b64 v[2:3], 6, v[8:9]
	v_cmp_ne_u64_e32 vcc, v[6:7], v[8:9]
	v_or_b32_e32 v3, 0, v3
	v_or_b32_e32 v2, v2, v0
	s_orn2_b64 s[2:3], vcc, exec
.LBB20_7:
	s_or_b64 exec, exec, s[30:31]
	s_and_b64 exec, exec, s[2:3]
	s_cbranch_execz .LBB20_10
; %bb.8:
	v_mad_u64_u32 v[4:5], s[2:3], v2, s20, 0
	s_lshl_b64 s[2:3], s[22:23], 2
	s_lshl_b64 s[22:23], s[28:29], 2
	;; [unrolled: 1-line block ×3, first 2 shown]
	s_add_u32 s7, s16, s18
	s_addc_u32 s16, s17, s19
	s_add_u32 s7, s7, s22
	v_mul_lo_u32 v6, v3, s20
	v_mul_lo_u32 v7, v2, s21
	s_addc_u32 s16, s16, s23
	v_add3_u32 v5, v5, v7, v6
	s_add_u32 s2, s7, s2
	v_lshlrev_b64 v[4:5], 2, v[4:5]
	s_addc_u32 s3, s16, s3
	v_mov_b32_e32 v6, s3
	v_add_co_u32_e32 v4, vcc, s2, v4
	s_lshl_b64 s[2:3], s[20:21], 8
	v_addc_co_u32_e32 v5, vcc, v6, v5, vcc
	v_lshlrev_b32_e32 v6, 2, v2
	s_mov_b64 s[16:17], 0
	v_mov_b32_e32 v7, s3
.LBB20_9:                               ; =>This Inner Loop Header: Depth=1
	global_load_dword v8, v[4:5], off
	v_add_co_u32_e32 v2, vcc, 64, v2
	v_addc_co_u32_e32 v3, vcc, 0, v3, vcc
	v_add_co_u32_e32 v4, vcc, s2, v4
	v_addc_co_u32_e32 v5, vcc, v5, v7, vcc
	v_cmp_le_i64_e32 vcc, s[12:13], v[2:3]
	s_or_b64 s[16:17], vcc, s[16:17]
	s_waitcnt vmcnt(0)
	ds_write_b32 v6, v8
	v_add_u32_e32 v6, 0x100, v6
	s_andn2_b64 exec, exec, s[16:17]
	s_cbranch_execnz .LBB20_9
.LBB20_10:
	s_or_b64 exec, exec, s[8:9]
	v_pk_mov_b32 v[2:3], s[14:15], s[14:15] op_sel:[0,1]
	v_cmp_ge_i64_e32 vcc, s[10:11], v[2:3]
	s_waitcnt lgkmcnt(0)
	; wave barrier
	s_waitcnt lgkmcnt(0)
	s_cbranch_vccnz .LBB20_37
; %bb.11:
	s_load_dwordx8 s[16:23], s[4:5], 0x40
	s_mul_i32 s2, s6, s27
	s_mul_hi_u32 s3, s6, s26
	s_add_i32 s3, s3, s2
	s_mul_i32 s2, s6, s26
	s_waitcnt lgkmcnt(0)
	s_mul_i32 s4, s6, s23
	s_mul_hi_u32 s5, s6, s22
	s_add_i32 s9, s5, s4
	s_lshl_b64 s[2:3], s[2:3], 2
	s_mul_i32 s8, s6, s22
	s_add_u32 s22, s24, s2
	s_addc_u32 s23, s25, s3
	s_cmp_gt_i32 s12, 1
	s_mul_i32 s4, s10, s21
	s_mul_hi_u32 s5, s10, s20
	s_cselect_b64 s[24:25], -1, 0
	s_add_i32 s31, s5, s4
	s_mul_i32 s30, s10, s20
	s_add_u32 s4, s8, s30
	s_addc_u32 s5, s9, s31
	s_add_u32 s4, s4, s18
	s_addc_u32 s5, s5, s19
	s_lshl_b64 s[20:21], s[20:21], 8
	s_lshl_b64 s[8:9], s[8:9], 2
	;; [unrolled: 1-line block ×3, first 2 shown]
	v_mov_b32_e32 v3, s13
	v_add_co_u32_e32 v2, vcc, s12, v13
	s_add_u32 s30, s8, s30
	v_addc_co_u32_e32 v3, vcc, v12, v3, vcc
	s_addc_u32 s31, s9, s31
	s_lshl_b64 s[8:9], s[18:19], 2
	v_mov_b32_e32 v5, s5
	v_add_co_u32_e32 v4, vcc, s4, v0
	s_add_u32 s8, s30, s8
	v_addc_co_u32_e32 v5, vcc, 0, v5, vcc
	v_lshrrev_b64 v[6:7], 6, v[2:3]
	s_addc_u32 s9, s31, s9
	v_add_co_u32_e32 v6, vcc, 1, v6
	s_add_u32 s33, s16, s8
	v_lshlrev_b64 v[4:5], 2, v[4:5]
	v_addc_co_u32_e32 v7, vcc, 0, v7, vcc
	v_lshlrev_b32_e32 v16, 2, v0
	s_addc_u32 s38, s17, s9
	v_mov_b32_e32 v9, s17
	v_add_co_u32_e32 v8, vcc, s16, v4
	s_mov_b64 s[4:5], 0x840
	s_mov_b32 s6, -1
	v_mov_b32_e32 v4, s38
	v_add_co_u32_e64 v18, s[8:9], s33, v16
	v_addc_co_u32_e32 v9, vcc, v9, v5, vcc
	v_cmp_gt_u64_e64 s[28:29], s[4:5], v[2:3]
	s_mov_b64 s[4:5], 0x83f
	s_brev_b32 s7, -4
	v_and_b32_e32 v12, -2, v6
	v_mov_b32_e32 v13, v7
	v_addc_co_u32_e64 v19, s[8:9], 0, v4, s[8:9]
	v_cmp_lt_u64_e64 s[4:5], s[4:5], v[2:3]
	v_lshlrev_b64 v[10:11], 2, v[2:3]
	v_cmp_lt_u64_e32 vcc, s[6:7], v[2:3]
	v_lshlrev_b64 v[2:3], 6, v[12:13]
	s_movk_i32 s8, 0x100
	v_mbcnt_lo_u32_b32 v4, -1, 0
	v_or_b32_e32 v15, 0, v3
	v_or_b32_e32 v14, v2, v0
	v_add_co_u32_e64 v20, s[8:9], s8, v18
	v_mbcnt_hi_u32_b32 v35, -1, v4
	v_cmp_gt_i32_e64 s[2:3], s12, v0
	v_cmp_eq_u32_e64 s[26:27], 0, v0
	v_lshrrev_b32_e32 v32, 4, v0
	v_and_b32_e32 v10, 0xffffff00, v10
	v_or_b32_e32 v2, 64, v0
	v_mov_b32_e32 v3, v1
	v_cmp_ne_u64_e64 s[6:7], v[6:7], v[12:13]
	v_lshlrev_b32_e32 v33, 2, v0
	v_mov_b32_e32 v17, 0
	v_addc_co_u32_e64 v21, s[8:9], 0, v19, s[8:9]
	s_mov_b64 s[16:17], 0
	v_lshlrev_b64 v[22:23], 2, v[14:15]
	v_mov_b32_e32 v34, s21
	v_pk_mov_b32 v[24:25], s[14:15], s[14:15] op_sel:[0,1]
	v_and_b32_e32 v36, 63, v35
	s_xor_b64 s[14:15], vcc, -1
	s_movk_i32 s39, 0x80
	s_branch .LBB20_13
.LBB20_12:                              ;   in Loop: Header=BB20_13 Depth=1
	s_or_b64 exec, exec, s[18:19]
	s_add_u32 s10, s10, 64
	v_add_co_u32_e32 v18, vcc, s20, v18
	s_addc_u32 s11, s11, 0
	v_addc_co_u32_e32 v19, vcc, v19, v34, vcc
	s_add_u32 s16, s16, 1
	v_add_co_u32_e32 v20, vcc, s20, v20
	s_addc_u32 s17, s17, 0
	v_addc_co_u32_e32 v21, vcc, v21, v34, vcc
	s_add_u32 s33, s33, s20
	v_cmp_ge_i64_e32 vcc, s[10:11], v[24:25]
	s_addc_u32 s38, s38, s21
	s_cbranch_vccnz .LBB20_37
.LBB20_13:                              ; =>This Loop Header: Depth=1
                                        ;     Child Loop BB20_15 Depth 2
                                        ;     Child Loop BB20_29 Depth 2
	;; [unrolled: 1-line block ×3, first 2 shown]
	v_mov_b32_e32 v6, 0
	s_and_saveexec_b64 s[8:9], s[2:3]
	s_cbranch_execz .LBB20_17
; %bb.14:                               ;   in Loop: Header=BB20_13 Depth=1
	s_mov_b64 s[18:19], 0
	v_mov_b32_e32 v6, 0
	v_pk_mov_b32 v[4:5], v[18:19], v[18:19] op_sel:[0,1]
	v_mov_b32_e32 v7, v33
	v_mov_b32_e32 v26, v0
.LBB20_15:                              ;   Parent Loop BB20_13 Depth=1
                                        ; =>  This Inner Loop Header: Depth=2
	global_load_dword v27, v[4:5], off
	ds_read_b32 v28, v7
	v_add_co_u32_e32 v4, vcc, 0x100, v4
	v_add_u32_e32 v26, 64, v26
	v_addc_co_u32_e32 v5, vcc, 0, v5, vcc
	v_cmp_le_i32_e32 vcc, s12, v26
	v_add_u32_e32 v7, 0x100, v7
	s_or_b64 s[18:19], vcc, s[18:19]
	s_waitcnt vmcnt(0) lgkmcnt(0)
	v_mul_f32_e32 v27, v28, v27
	v_add_f32_e32 v6, v6, v27
	s_andn2_b64 exec, exec, s[18:19]
	s_cbranch_execnz .LBB20_15
; %bb.16:                               ;   in Loop: Header=BB20_13 Depth=1
	s_or_b64 exec, exec, s[18:19]
.LBB20_17:                              ;   in Loop: Header=BB20_13 Depth=1
	s_or_b64 exec, exec, s[8:9]
	s_and_b64 vcc, exec, s[24:25]
	s_cbranch_vccz .LBB20_22
; %bb.18:                               ;   in Loop: Header=BB20_13 Depth=1
	v_cmp_ne_u32_e32 vcc, 63, v36
	v_addc_co_u32_e32 v4, vcc, 0, v35, vcc
	v_lshlrev_b32_e32 v4, 2, v4
	ds_bpermute_b32 v4, v4, v6
	v_cmp_gt_u32_e32 vcc, 62, v36
	v_cndmask_b32_e64 v5, 0, 1, vcc
	v_lshlrev_b32_e32 v5, 1, v5
	v_add_lshl_u32 v5, v5, v35, 2
	s_waitcnt lgkmcnt(0)
	v_add_f32_e32 v4, v6, v4
	ds_bpermute_b32 v5, v5, v4
	v_cmp_gt_u32_e32 vcc, 60, v36
	v_cndmask_b32_e64 v7, 0, 1, vcc
	v_cmp_gt_u32_e32 vcc, 56, v36
	s_waitcnt lgkmcnt(0)
	v_add_f32_e32 v4, v4, v5
	v_lshlrev_b32_e32 v5, 2, v7
	v_add_lshl_u32 v5, v5, v35, 2
	ds_bpermute_b32 v5, v5, v4
	v_cndmask_b32_e64 v7, 0, 1, vcc
	v_cmp_gt_u32_e32 vcc, 48, v36
	s_waitcnt lgkmcnt(0)
	v_add_f32_e32 v4, v4, v5
	v_lshlrev_b32_e32 v5, 3, v7
	v_add_lshl_u32 v5, v5, v35, 2
	ds_bpermute_b32 v5, v5, v4
	;; [unrolled: 7-line block ×3, first 2 shown]
	v_cndmask_b32_e64 v7, 0, 1, vcc
	s_waitcnt lgkmcnt(0)
	v_add_f32_e32 v4, v4, v5
	v_lshlrev_b32_e32 v5, 5, v7
	v_add_lshl_u32 v5, v5, v35, 2
	ds_bpermute_b32 v5, v5, v4
	s_waitcnt lgkmcnt(0)
	v_add_f32_e32 v4, v4, v5
	s_and_saveexec_b64 s[8:9], s[26:27]
	s_cbranch_execz .LBB20_20
; %bb.19:                               ;   in Loop: Header=BB20_13 Depth=1
	ds_write_b32 v32, v4 offset:8192
.LBB20_20:                              ;   in Loop: Header=BB20_13 Depth=1
	s_or_b64 exec, exec, s[8:9]
	s_waitcnt lgkmcnt(0)
	; wave barrier
	s_waitcnt lgkmcnt(0)
	s_mov_b64 s[8:9], s[26:27]
.LBB20_21:                              ;   in Loop: Header=BB20_13 Depth=1
	v_mov_b32_e32 v6, v4
	s_and_saveexec_b64 s[18:19], s[8:9]
	s_cbranch_execnz .LBB20_24
	s_branch .LBB20_25
.LBB20_22:                              ;   in Loop: Header=BB20_13 Depth=1
	s_mov_b64 s[8:9], 0
                                        ; implicit-def: $vgpr4
	s_cbranch_execz .LBB20_21
; %bb.23:                               ;   in Loop: Header=BB20_13 Depth=1
	s_andn2_b64 s[8:9], s[8:9], exec
	s_and_b64 s[18:19], s[26:27], exec
	s_or_b64 s[8:9], s[8:9], s[18:19]
	s_and_saveexec_b64 s[18:19], s[8:9]
	s_cbranch_execz .LBB20_25
.LBB20_24:                              ;   in Loop: Header=BB20_13 Depth=1
	ds_write_b32 v17, v6 offset:8192
.LBB20_25:                              ;   in Loop: Header=BB20_13 Depth=1
	s_or_b64 exec, exec, s[18:19]
	s_waitcnt lgkmcnt(0)
	; wave barrier
	s_waitcnt lgkmcnt(0)
	s_and_saveexec_b64 s[18:19], s[0:1]
	s_cbranch_execz .LBB20_12
; %bb.26:                               ;   in Loop: Header=BB20_13 Depth=1
	global_load_dword v6, v17, s[22:23]
	ds_read_b32 v7, v17 offset:8192
	s_mov_b64 s[8:9], s[28:29]
	v_pk_mov_b32 v[4:5], v[0:1], v[0:1] op_sel:[0,1]
	s_waitcnt vmcnt(0) lgkmcnt(0)
	v_mul_f32_e64 v26, v7, -v6
	v_pk_mov_b32 v[6:7], v[16:17], v[16:17] op_sel:[0,1]
	s_and_saveexec_b64 s[30:31], s[4:5]
	s_cbranch_execz .LBB20_34
; %bb.27:                               ;   in Loop: Header=BB20_13 Depth=1
	s_mul_i32 s8, s21, s16
	s_mul_i32 s9, s20, s17
	v_mov_b32_e32 v4, s16
	s_add_i32 s34, s9, s8
	v_mad_u64_u32 v[4:5], s[8:9], s20, v4, v[8:9]
	v_add_u32_e32 v5, s34, v5
	v_add_co_u32_e32 v6, vcc, v4, v10
	v_addc_co_u32_e32 v7, vcc, v5, v11, vcc
	v_cmp_ge_u64_e32 vcc, v[6:7], v[4:5]
	s_mov_b64 s[8:9], -1
	s_and_b64 s[36:37], vcc, s[14:15]
	v_pk_mov_b32 v[4:5], v[0:1], v[0:1] op_sel:[0,1]
	v_pk_mov_b32 v[6:7], v[16:17], v[16:17] op_sel:[0,1]
	s_and_saveexec_b64 s[34:35], s[36:37]
	s_cbranch_execz .LBB20_33
; %bb.28:                               ;   in Loop: Header=BB20_13 Depth=1
	v_pk_mov_b32 v[6:7], v[2:3], v[2:3] op_sel:[0,1]
	v_mov_b32_e32 v27, v26
	s_mov_b64 s[36:37], 0
	v_pk_mov_b32 v[28:29], v[12:13], v[12:13] op_sel:[0,1]
	v_pk_mov_b32 v[30:31], v[20:21], v[20:21] op_sel:[0,1]
	;; [unrolled: 1-line block ×3, first 2 shown]
.LBB20_29:                              ;   Parent Loop BB20_13 Depth=1
                                        ; =>  This Inner Loop Header: Depth=2
	global_load_dword v38, v[30:31], off offset:-256
	global_load_dword v39, v[30:31], off
	v_lshlrev_b32_e32 v37, 2, v4
	v_lshlrev_b32_e32 v41, 2, v6
	ds_read_b32 v40, v37
	ds_read_b32 v41, v41
	v_add_co_u32_e32 v6, vcc, s39, v6
	v_addc_co_u32_e32 v7, vcc, 0, v7, vcc
	v_add_co_u32_e64 v28, s[8:9], -2, v28
	v_add_co_u32_e32 v4, vcc, s39, v4
	v_addc_co_u32_e64 v29, s[8:9], -1, v29, s[8:9]
	v_addc_co_u32_e32 v5, vcc, 0, v5, vcc
	v_cmp_eq_u64_e64 s[8:9], 0, v[28:29]
	s_or_b64 s[36:37], s[8:9], s[36:37]
	s_waitcnt vmcnt(0) lgkmcnt(0)
	v_pk_fma_f32 v[38:39], v[26:27], v[40:41], v[38:39]
	global_store_dword v[30:31], v38, off offset:-256
	global_store_dword v[30:31], v39, off
	v_add_co_u32_e32 v30, vcc, 0x200, v30
	v_addc_co_u32_e32 v31, vcc, 0, v31, vcc
	s_andn2_b64 exec, exec, s[36:37]
	s_cbranch_execnz .LBB20_29
; %bb.30:                               ;   in Loop: Header=BB20_13 Depth=1
	s_or_b64 exec, exec, s[36:37]
	s_mov_b64 s[8:9], 0
	s_and_saveexec_b64 s[36:37], s[6:7]
	s_xor_b64 s[36:37], exec, s[36:37]
; %bb.31:                               ;   in Loop: Header=BB20_13 Depth=1
	s_mov_b64 s[8:9], exec
; %bb.32:                               ;   in Loop: Header=BB20_13 Depth=1
	s_or_b64 exec, exec, s[36:37]
	s_orn2_b64 s[8:9], s[8:9], exec
	v_pk_mov_b32 v[4:5], v[14:15], v[14:15] op_sel:[0,1]
	v_pk_mov_b32 v[6:7], v[22:23], v[22:23] op_sel:[0,1]
.LBB20_33:                              ;   in Loop: Header=BB20_13 Depth=1
	s_or_b64 exec, exec, s[34:35]
	s_andn2_b64 s[34:35], s[28:29], exec
	s_and_b64 s[8:9], s[8:9], exec
	s_or_b64 s[8:9], s[34:35], s[8:9]
.LBB20_34:                              ;   in Loop: Header=BB20_13 Depth=1
	s_or_b64 exec, exec, s[30:31]
	s_and_b64 exec, exec, s[8:9]
	s_cbranch_execz .LBB20_12
; %bb.35:                               ;   in Loop: Header=BB20_13 Depth=1
	v_mov_b32_e32 v28, s38
	v_add_co_u32_e32 v6, vcc, s33, v6
	v_lshlrev_b32_e32 v27, 2, v4
	v_addc_co_u32_e32 v7, vcc, v28, v7, vcc
	s_mov_b64 s[8:9], 0
.LBB20_36:                              ;   Parent Loop BB20_13 Depth=1
                                        ; =>  This Inner Loop Header: Depth=2
	global_load_dword v28, v[6:7], off
	ds_read_b32 v29, v27
	v_add_co_u32_e32 v4, vcc, 64, v4
	v_addc_co_u32_e32 v5, vcc, 0, v5, vcc
	v_cmp_le_i64_e32 vcc, s[12:13], v[4:5]
	s_or_b64 s[8:9], vcc, s[8:9]
	v_add_u32_e32 v27, 0x100, v27
	s_waitcnt vmcnt(0) lgkmcnt(0)
	v_fmac_f32_e32 v28, v26, v29
	global_store_dword v[6:7], v28, off
	v_add_co_u32_e32 v6, vcc, 0x100, v6
	v_addc_co_u32_e32 v7, vcc, 0, v7, vcc
	s_andn2_b64 exec, exec, s[8:9]
	s_cbranch_execnz .LBB20_36
	s_branch .LBB20_12
.LBB20_37:
	s_endpgm
	.section	.rodata,"a",@progbits
	.p2align	6, 0x0
	.amdhsa_kernel _ZN9rocsolver6v33100L22larf_left_kernel_smallILi64EflPfEEvT1_S3_T2_lS3_lPKT0_lS4_lS3_l
		.amdhsa_group_segment_fixed_size 8448
		.amdhsa_private_segment_fixed_size 0
		.amdhsa_kernarg_size 96
		.amdhsa_user_sgpr_count 6
		.amdhsa_user_sgpr_private_segment_buffer 1
		.amdhsa_user_sgpr_dispatch_ptr 0
		.amdhsa_user_sgpr_queue_ptr 0
		.amdhsa_user_sgpr_kernarg_segment_ptr 1
		.amdhsa_user_sgpr_dispatch_id 0
		.amdhsa_user_sgpr_flat_scratch_init 0
		.amdhsa_user_sgpr_kernarg_preload_length 0
		.amdhsa_user_sgpr_kernarg_preload_offset 0
		.amdhsa_user_sgpr_private_segment_size 0
		.amdhsa_uses_dynamic_stack 0
		.amdhsa_system_sgpr_private_segment_wavefront_offset 0
		.amdhsa_system_sgpr_workgroup_id_x 1
		.amdhsa_system_sgpr_workgroup_id_y 1
		.amdhsa_system_sgpr_workgroup_id_z 0
		.amdhsa_system_sgpr_workgroup_info 0
		.amdhsa_system_vgpr_workitem_id 0
		.amdhsa_next_free_vgpr 42
		.amdhsa_next_free_sgpr 40
		.amdhsa_accum_offset 44
		.amdhsa_reserve_vcc 1
		.amdhsa_reserve_flat_scratch 0
		.amdhsa_float_round_mode_32 0
		.amdhsa_float_round_mode_16_64 0
		.amdhsa_float_denorm_mode_32 3
		.amdhsa_float_denorm_mode_16_64 3
		.amdhsa_dx10_clamp 1
		.amdhsa_ieee_mode 1
		.amdhsa_fp16_overflow 0
		.amdhsa_tg_split 0
		.amdhsa_exception_fp_ieee_invalid_op 0
		.amdhsa_exception_fp_denorm_src 0
		.amdhsa_exception_fp_ieee_div_zero 0
		.amdhsa_exception_fp_ieee_overflow 0
		.amdhsa_exception_fp_ieee_underflow 0
		.amdhsa_exception_fp_ieee_inexact 0
		.amdhsa_exception_int_div_zero 0
	.end_amdhsa_kernel
	.section	.text._ZN9rocsolver6v33100L22larf_left_kernel_smallILi64EflPfEEvT1_S3_T2_lS3_lPKT0_lS4_lS3_l,"axG",@progbits,_ZN9rocsolver6v33100L22larf_left_kernel_smallILi64EflPfEEvT1_S3_T2_lS3_lPKT0_lS4_lS3_l,comdat
.Lfunc_end20:
	.size	_ZN9rocsolver6v33100L22larf_left_kernel_smallILi64EflPfEEvT1_S3_T2_lS3_lPKT0_lS4_lS3_l, .Lfunc_end20-_ZN9rocsolver6v33100L22larf_left_kernel_smallILi64EflPfEEvT1_S3_T2_lS3_lPKT0_lS4_lS3_l
                                        ; -- End function
	.section	.AMDGPU.csdata,"",@progbits
; Kernel info:
; codeLenInByte = 2100
; NumSgprs: 44
; NumVgprs: 42
; NumAgprs: 0
; TotalNumVgprs: 42
; ScratchSize: 0
; MemoryBound: 0
; FloatMode: 240
; IeeeMode: 1
; LDSByteSize: 8448 bytes/workgroup (compile time only)
; SGPRBlocks: 5
; VGPRBlocks: 5
; NumSGPRsForWavesPerEU: 44
; NumVGPRsForWavesPerEU: 42
; AccumOffset: 44
; Occupancy: 2
; WaveLimiterHint : 1
; COMPUTE_PGM_RSRC2:SCRATCH_EN: 0
; COMPUTE_PGM_RSRC2:USER_SGPR: 6
; COMPUTE_PGM_RSRC2:TRAP_HANDLER: 0
; COMPUTE_PGM_RSRC2:TGID_X_EN: 1
; COMPUTE_PGM_RSRC2:TGID_Y_EN: 1
; COMPUTE_PGM_RSRC2:TGID_Z_EN: 0
; COMPUTE_PGM_RSRC2:TIDIG_COMP_CNT: 0
; COMPUTE_PGM_RSRC3_GFX90A:ACCUM_OFFSET: 10
; COMPUTE_PGM_RSRC3_GFX90A:TG_SPLIT: 0
	.section	.text._ZN9rocsolver6v33100L22larf_left_kernel_smallILi128EflPfEEvT1_S3_T2_lS3_lPKT0_lS4_lS3_l,"axG",@progbits,_ZN9rocsolver6v33100L22larf_left_kernel_smallILi128EflPfEEvT1_S3_T2_lS3_lPKT0_lS4_lS3_l,comdat
	.globl	_ZN9rocsolver6v33100L22larf_left_kernel_smallILi128EflPfEEvT1_S3_T2_lS3_lPKT0_lS4_lS3_l ; -- Begin function _ZN9rocsolver6v33100L22larf_left_kernel_smallILi128EflPfEEvT1_S3_T2_lS3_lPKT0_lS4_lS3_l
	.p2align	8
	.type	_ZN9rocsolver6v33100L22larf_left_kernel_smallILi128EflPfEEvT1_S3_T2_lS3_lPKT0_lS4_lS3_l,@function
_ZN9rocsolver6v33100L22larf_left_kernel_smallILi128EflPfEEvT1_S3_T2_lS3_lPKT0_lS4_lS3_l: ; @_ZN9rocsolver6v33100L22larf_left_kernel_smallILi128EflPfEEvT1_S3_T2_lS3_lPKT0_lS4_lS3_l
; %bb.0:
	s_load_dwordx16 s[16:31], s[4:5], 0x0
	s_mov_b32 s14, s7
	s_mov_b64 s[10:11], 0
	s_waitcnt lgkmcnt(0)
	v_cmp_gt_i64_e64 s[0:1], s[24:25], 0
	s_and_b64 vcc, exec, s[0:1]
	s_cbranch_vccnz .LBB21_2
; %bb.1:
	s_sub_u32 s0, 1, s16
	s_subb_u32 s1, 0, s17
	s_mul_i32 s2, s0, s25
	s_mul_hi_u32 s3, s0, s24
	s_add_i32 s2, s3, s2
	s_mul_i32 s1, s1, s24
	s_add_i32 s11, s2, s1
	s_mul_i32 s10, s0, s24
.LBB21_2:
	v_mov_b32_e32 v1, 0
	s_mov_b32 s15, 0
	v_cmp_gt_i64_e64 s[0:1], s[16:17], v[0:1]
	v_not_b32_e32 v12, 0
	v_not_b32_e32 v13, v0
	s_and_saveexec_b64 s[8:9], s[0:1]
	s_cbranch_execz .LBB21_10
; %bb.3:
	s_mul_i32 s2, s6, s27
	s_mul_hi_u32 s3, s6, s26
	v_mov_b32_e32 v2, s17
	v_add_co_u32_e32 v4, vcc, s16, v13
	s_add_i32 s13, s3, s2
	v_addc_co_u32_e32 v5, vcc, v12, v2, vcc
	s_mov_b64 s[2:3], 0x7f
	s_mul_i32 s12, s6, s26
	v_cmp_lt_u64_e32 vcc, s[2:3], v[4:5]
	s_mov_b64 s[2:3], -1
	v_pk_mov_b32 v[2:3], v[0:1], v[0:1] op_sel:[0,1]
	s_and_saveexec_b64 s[26:27], vcc
	s_cbranch_execz .LBB21_7
; %bb.4:
	s_lshl_b64 s[2:3], s[12:13], 2
	s_add_u32 s7, s20, s2
	s_addc_u32 s33, s21, s3
	s_lshl_b64 s[2:3], s[22:23], 2
	s_add_u32 s7, s7, s2
	v_lshrrev_b64 v[2:3], 7, v[4:5]
	s_addc_u32 s33, s33, s3
	s_lshl_b64 s[2:3], s[10:11], 2
	v_add_co_u32_e32 v6, vcc, 1, v2
	s_add_u32 s7, s7, s2
	v_addc_co_u32_e32 v7, vcc, 0, v3, vcc
	v_or_b32_e32 v2, 0x80, v0
	v_mov_b32_e32 v3, v1
	s_addc_u32 s2, s33, s3
	v_and_b32_e32 v8, -2, v6
	v_mov_b32_e32 v9, v7
	v_pk_mov_b32 v[4:5], v[2:3], v[2:3] op_sel:[0,1]
	s_mov_b32 s33, s24
	s_mov_b32 s36, s25
	s_mov_b64 s[34:35], 0
	v_mov_b32_e32 v14, s2
	s_movk_i32 s37, 0x100
	v_pk_mov_b32 v[10:11], v[8:9], v[8:9] op_sel:[0,1]
	v_pk_mov_b32 v[2:3], v[0:1], v[0:1] op_sel:[0,1]
.LBB21_5:                               ; =>This Inner Loop Header: Depth=1
	v_mul_lo_u32 v21, v3, s24
	v_mul_lo_u32 v22, v2, s25
	v_mad_u64_u32 v[18:19], s[2:3], v2, s24, 0
	v_add3_u32 v19, v19, v22, v21
	v_mul_lo_u32 v15, v5, s33
	v_mul_lo_u32 v20, v4, s36
	v_mad_u64_u32 v[16:17], s[2:3], v4, s33, 0
	v_lshlrev_b64 v[18:19], 2, v[18:19]
	v_add3_u32 v17, v17, v20, v15
	v_add_co_u32_e32 v18, vcc, s7, v18
	v_lshlrev_b64 v[16:17], 2, v[16:17]
	v_addc_co_u32_e32 v19, vcc, v14, v19, vcc
	v_add_co_u32_e32 v16, vcc, s7, v16
	v_addc_co_u32_e32 v17, vcc, v14, v17, vcc
	global_load_dword v15, v[18:19], off
	global_load_dword v20, v[16:17], off
	v_lshlrev_b32_e32 v17, 2, v4
	v_add_co_u32_e32 v4, vcc, s37, v4
	v_add_co_u32_e64 v10, s[2:3], -2, v10
	v_addc_co_u32_e64 v11, s[2:3], -1, v11, s[2:3]
	v_addc_co_u32_e32 v5, vcc, 0, v5, vcc
	v_lshlrev_b32_e32 v16, 2, v2
	v_add_co_u32_e32 v2, vcc, 0x100, v2
	v_cmp_eq_u64_e64 s[2:3], 0, v[10:11]
	v_addc_co_u32_e32 v3, vcc, 0, v3, vcc
	s_or_b64 s[34:35], s[2:3], s[34:35]
	s_waitcnt vmcnt(1)
	ds_write_b32 v16, v15
	s_waitcnt vmcnt(0)
	ds_write_b32 v17, v20
	s_andn2_b64 exec, exec, s[34:35]
	s_cbranch_execnz .LBB21_5
; %bb.6:
	s_or_b64 exec, exec, s[34:35]
	v_lshlrev_b64 v[2:3], 7, v[8:9]
	v_cmp_ne_u64_e32 vcc, v[6:7], v[8:9]
	v_or_b32_e32 v3, 0, v3
	v_or_b32_e32 v2, v2, v0
	s_orn2_b64 s[2:3], vcc, exec
.LBB21_7:
	s_or_b64 exec, exec, s[26:27]
	s_and_b64 exec, exec, s[2:3]
	s_cbranch_execz .LBB21_10
; %bb.8:
	v_mad_u64_u32 v[4:5], s[2:3], v2, s24, 0
	s_lshl_b64 s[2:3], s[12:13], 2
	s_lshl_b64 s[10:11], s[10:11], 2
	;; [unrolled: 1-line block ×3, first 2 shown]
	s_add_u32 s7, s20, s12
	s_addc_u32 s12, s21, s13
	s_add_u32 s7, s7, s10
	v_mul_lo_u32 v6, v3, s24
	v_mul_lo_u32 v7, v2, s25
	s_addc_u32 s10, s12, s11
	v_add3_u32 v5, v5, v7, v6
	s_add_u32 s2, s7, s2
	v_lshlrev_b64 v[4:5], 2, v[4:5]
	s_addc_u32 s3, s10, s3
	v_mov_b32_e32 v6, s3
	v_add_co_u32_e32 v4, vcc, s2, v4
	s_lshl_b64 s[10:11], s[24:25], 9
	v_addc_co_u32_e32 v5, vcc, v6, v5, vcc
	v_lshlrev_b32_e32 v6, 2, v2
	s_mov_b64 s[12:13], 0
	v_mov_b32_e32 v7, s11
.LBB21_9:                               ; =>This Inner Loop Header: Depth=1
	global_load_dword v8, v[4:5], off
	v_add_co_u32_e32 v2, vcc, 0x80, v2
	v_addc_co_u32_e32 v3, vcc, 0, v3, vcc
	v_add_co_u32_e64 v4, s[2:3], s10, v4
	v_cmp_le_i64_e32 vcc, s[16:17], v[2:3]
	v_addc_co_u32_e64 v5, s[2:3], v5, v7, s[2:3]
	s_or_b64 s[12:13], vcc, s[12:13]
	s_waitcnt vmcnt(0)
	ds_write_b32 v6, v8
	v_add_u32_e32 v6, 0x200, v6
	s_andn2_b64 exec, exec, s[12:13]
	s_cbranch_execnz .LBB21_9
.LBB21_10:
	s_or_b64 exec, exec, s[8:9]
	v_pk_mov_b32 v[2:3], s[18:19], s[18:19] op_sel:[0,1]
	v_cmp_ge_i64_e32 vcc, s[14:15], v[2:3]
	s_waitcnt lgkmcnt(0)
	s_barrier
	s_cbranch_vccnz .LBB21_39
; %bb.11:
	s_load_dwordx8 s[20:27], s[4:5], 0x40
	s_mul_i32 s2, s6, s31
	s_mul_hi_u32 s3, s6, s30
	s_add_i32 s3, s3, s2
	s_mul_i32 s2, s6, s30
	s_waitcnt lgkmcnt(0)
	s_mul_i32 s4, s6, s27
	s_mul_hi_u32 s5, s6, s26
	s_add_i32 s13, s5, s4
	s_lshl_b64 s[2:3], s[2:3], 2
	s_mul_i32 s12, s6, s26
	s_add_u32 s26, s28, s2
	s_addc_u32 s27, s29, s3
	s_cmp_gt_i32 s16, 1
	s_mul_i32 s8, s14, s25
	s_mul_hi_u32 s9, s14, s24
	s_cselect_b64 s[28:29], -1, 0
	s_add_i32 s35, s9, s8
	s_mul_i32 s34, s14, s24
	s_add_u32 s8, s12, s34
	s_addc_u32 s9, s13, s35
	s_add_u32 s8, s8, s22
	v_and_b32_e32 v2, 63, v0
	s_addc_u32 s9, s9, s23
	s_lshl_b64 s[24:25], s[24:25], 8
	s_lshl_b64 s[12:13], s[12:13], 2
	;; [unrolled: 1-line block ×3, first 2 shown]
	v_cmp_eq_u32_e64 s[4:5], 0, v2
	v_mov_b32_e32 v3, s17
	v_add_co_u32_e32 v2, vcc, s16, v13
	s_add_u32 s33, s12, s34
	v_addc_co_u32_e32 v3, vcc, v12, v3, vcc
	s_addc_u32 s34, s13, s35
	s_lshl_b64 s[12:13], s[22:23], 2
	v_mov_b32_e32 v5, s9
	v_add_co_u32_e32 v4, vcc, s8, v0
	s_add_u32 s12, s33, s12
	v_addc_co_u32_e32 v5, vcc, 0, v5, vcc
	v_lshrrev_b64 v[6:7], 7, v[2:3]
	s_addc_u32 s13, s34, s13
	v_add_co_u32_e32 v6, vcc, 1, v6
	s_add_u32 s33, s20, s12
	v_lshlrev_b64 v[4:5], 2, v[4:5]
	v_addc_co_u32_e32 v7, vcc, 0, v7, vcc
	v_lshlrev_b32_e32 v16, 2, v0
	s_addc_u32 s42, s21, s13
	v_mov_b32_e32 v9, s21
	v_add_co_u32_e32 v8, vcc, s20, v4
	s_mov_b64 s[8:9], 0x1080
	s_mov_b32 s10, -1
	v_mov_b32_e32 v4, s42
	v_add_co_u32_e64 v18, s[12:13], s33, v16
	v_addc_co_u32_e32 v9, vcc, v9, v5, vcc
	v_cmp_gt_u64_e64 s[30:31], s[8:9], v[2:3]
	s_mov_b64 s[8:9], 0x107f
	s_brev_b32 s11, -4
	v_and_b32_e32 v12, -2, v6
	v_mov_b32_e32 v13, v7
	v_addc_co_u32_e64 v19, s[12:13], 0, v4, s[12:13]
	v_cmp_lt_u64_e64 s[8:9], s[8:9], v[2:3]
	v_lshlrev_b64 v[10:11], 2, v[2:3]
	v_cmp_lt_u64_e32 vcc, s[10:11], v[2:3]
	v_lshlrev_b64 v[2:3], 7, v[12:13]
	s_movk_i32 s12, 0x200
	v_mbcnt_lo_u32_b32 v4, -1, 0
	v_or_b32_e32 v15, 0, v3
	v_or_b32_e32 v14, v2, v0
	v_add_co_u32_e64 v20, s[12:13], s12, v18
	v_mbcnt_hi_u32_b32 v32, -1, v4
	v_cmp_gt_i32_e64 s[2:3], s16, v0
	v_lshrrev_b32_e32 v30, 4, v0
	v_cmp_eq_u32_e64 s[6:7], 0, v0
	v_and_b32_e32 v10, 0xfffffe00, v10
	v_or_b32_e32 v2, 0x80, v0
	v_mov_b32_e32 v3, v1
	v_cmp_ne_u64_e64 s[10:11], v[6:7], v[12:13]
	v_lshlrev_b32_e32 v31, 2, v0
	v_mov_b32_e32 v17, 0
	v_addc_co_u32_e64 v21, s[12:13], 0, v19, s[12:13]
	s_mov_b64 s[20:21], 0
	v_and_b32_e32 v33, 63, v32
	s_xor_b64 s[22:23], vcc, -1
	s_movk_i32 s43, 0x100
	v_lshlrev_b64 v[22:23], 2, v[14:15]
	s_branch .LBB21_13
.LBB21_12:                              ;   in Loop: Header=BB21_13 Depth=1
	s_or_b64 exec, exec, s[34:35]
	s_add_u32 s14, s14, 64
	v_mov_b32_e32 v4, s25
	v_add_co_u32_e32 v18, vcc, s24, v18
	s_addc_u32 s15, s15, 0
	v_addc_co_u32_e32 v19, vcc, v19, v4, vcc
	s_add_u32 s20, s20, 1
	v_add_co_u32_e32 v20, vcc, s24, v20
	s_addc_u32 s21, s21, 0
	v_addc_co_u32_e32 v21, vcc, v21, v4, vcc
	v_pk_mov_b32 v[4:5], s[18:19], s[18:19] op_sel:[0,1]
	s_add_u32 s33, s33, s24
	v_cmp_ge_i64_e32 vcc, s[14:15], v[4:5]
	s_addc_u32 s42, s42, s25
	s_cbranch_vccnz .LBB21_39
.LBB21_13:                              ; =>This Loop Header: Depth=1
                                        ;     Child Loop BB21_15 Depth 2
                                        ;     Child Loop BB21_31 Depth 2
	;; [unrolled: 1-line block ×3, first 2 shown]
	v_mov_b32_e32 v6, 0
	s_and_saveexec_b64 s[12:13], s[2:3]
	s_cbranch_execz .LBB21_17
; %bb.14:                               ;   in Loop: Header=BB21_13 Depth=1
	s_mov_b64 s[34:35], 0
	v_mov_b32_e32 v6, 0
	v_pk_mov_b32 v[4:5], v[18:19], v[18:19] op_sel:[0,1]
	v_mov_b32_e32 v7, v31
	v_mov_b32_e32 v24, v0
.LBB21_15:                              ;   Parent Loop BB21_13 Depth=1
                                        ; =>  This Inner Loop Header: Depth=2
	global_load_dword v25, v[4:5], off
	ds_read_b32 v26, v7
	v_add_co_u32_e32 v4, vcc, 0x200, v4
	v_add_u32_e32 v24, 0x80, v24
	v_addc_co_u32_e32 v5, vcc, 0, v5, vcc
	v_cmp_le_i32_e32 vcc, s16, v24
	v_add_u32_e32 v7, 0x200, v7
	s_or_b64 s[34:35], vcc, s[34:35]
	s_waitcnt vmcnt(0) lgkmcnt(0)
	v_mul_f32_e32 v25, v26, v25
	v_add_f32_e32 v6, v6, v25
	s_andn2_b64 exec, exec, s[34:35]
	s_cbranch_execnz .LBB21_15
; %bb.16:                               ;   in Loop: Header=BB21_13 Depth=1
	s_or_b64 exec, exec, s[34:35]
.LBB21_17:                              ;   in Loop: Header=BB21_13 Depth=1
	s_or_b64 exec, exec, s[12:13]
	s_and_b64 vcc, exec, s[28:29]
	s_cbranch_vccz .LBB21_24
; %bb.18:                               ;   in Loop: Header=BB21_13 Depth=1
	v_cmp_ne_u32_e32 vcc, 63, v33
	v_addc_co_u32_e32 v4, vcc, 0, v32, vcc
	v_lshlrev_b32_e32 v4, 2, v4
	ds_bpermute_b32 v4, v4, v6
	v_cmp_gt_u32_e32 vcc, 62, v33
	v_cndmask_b32_e64 v5, 0, 1, vcc
	v_lshlrev_b32_e32 v5, 1, v5
	v_add_lshl_u32 v5, v5, v32, 2
	s_waitcnt lgkmcnt(0)
	v_add_f32_e32 v4, v6, v4
	ds_bpermute_b32 v5, v5, v4
	v_cmp_gt_u32_e32 vcc, 60, v33
	v_cndmask_b32_e64 v7, 0, 1, vcc
	v_cmp_gt_u32_e32 vcc, 56, v33
	s_waitcnt lgkmcnt(0)
	v_add_f32_e32 v4, v4, v5
	v_lshlrev_b32_e32 v5, 2, v7
	v_add_lshl_u32 v5, v5, v32, 2
	ds_bpermute_b32 v5, v5, v4
	v_cndmask_b32_e64 v7, 0, 1, vcc
	v_cmp_gt_u32_e32 vcc, 48, v33
	s_waitcnt lgkmcnt(0)
	v_add_f32_e32 v4, v4, v5
	v_lshlrev_b32_e32 v5, 3, v7
	v_add_lshl_u32 v5, v5, v32, 2
	ds_bpermute_b32 v5, v5, v4
	;; [unrolled: 7-line block ×3, first 2 shown]
	v_cndmask_b32_e64 v7, 0, 1, vcc
	s_waitcnt lgkmcnt(0)
	v_add_f32_e32 v4, v4, v5
	v_lshlrev_b32_e32 v5, 5, v7
	v_add_lshl_u32 v5, v5, v32, 2
	ds_bpermute_b32 v5, v5, v4
	s_waitcnt lgkmcnt(0)
	v_add_f32_e32 v5, v4, v5
	s_and_saveexec_b64 s[12:13], s[4:5]
	s_cbranch_execz .LBB21_20
; %bb.19:                               ;   in Loop: Header=BB21_13 Depth=1
	ds_write_b32 v30, v5 offset:8192
.LBB21_20:                              ;   in Loop: Header=BB21_13 Depth=1
	s_or_b64 exec, exec, s[12:13]
	s_mov_b64 s[34:35], 0
	s_mov_b64 s[12:13], 0
	s_waitcnt lgkmcnt(0)
	s_barrier
	s_waitcnt lgkmcnt(0)
                                        ; implicit-def: $vgpr4
	s_and_saveexec_b64 s[36:37], s[6:7]
	s_xor_b64 s[36:37], exec, s[36:37]
	s_cbranch_execz .LBB21_22
; %bb.21:                               ;   in Loop: Header=BB21_13 Depth=1
	ds_read_b32 v4, v17 offset:8196
	s_mov_b64 s[12:13], exec
	s_waitcnt lgkmcnt(0)
	v_add_f32_e32 v4, v5, v4
.LBB21_22:                              ;   in Loop: Header=BB21_13 Depth=1
	s_or_b64 exec, exec, s[36:37]
	s_and_b64 vcc, exec, s[34:35]
	s_cbranch_vccnz .LBB21_25
.LBB21_23:                              ;   in Loop: Header=BB21_13 Depth=1
	v_mov_b32_e32 v6, v4
	s_and_saveexec_b64 s[34:35], s[12:13]
	s_cbranch_execnz .LBB21_26
	s_branch .LBB21_27
.LBB21_24:                              ;   in Loop: Header=BB21_13 Depth=1
	s_mov_b64 s[12:13], 0
                                        ; implicit-def: $vgpr4
	s_cbranch_execz .LBB21_23
.LBB21_25:                              ;   in Loop: Header=BB21_13 Depth=1
	s_andn2_b64 s[12:13], s[12:13], exec
	s_and_b64 s[34:35], s[6:7], exec
	s_or_b64 s[12:13], s[12:13], s[34:35]
	s_and_saveexec_b64 s[34:35], s[12:13]
	s_cbranch_execz .LBB21_27
.LBB21_26:                              ;   in Loop: Header=BB21_13 Depth=1
	ds_write_b32 v17, v6 offset:8192
.LBB21_27:                              ;   in Loop: Header=BB21_13 Depth=1
	s_or_b64 exec, exec, s[34:35]
	s_waitcnt lgkmcnt(0)
	s_barrier
	s_and_saveexec_b64 s[34:35], s[0:1]
	s_cbranch_execz .LBB21_12
; %bb.28:                               ;   in Loop: Header=BB21_13 Depth=1
	global_load_dword v6, v17, s[26:27]
	ds_read_b32 v7, v17 offset:8192
	s_mov_b64 s[12:13], s[30:31]
	v_pk_mov_b32 v[4:5], v[0:1], v[0:1] op_sel:[0,1]
	s_waitcnt vmcnt(0) lgkmcnt(0)
	v_mul_f32_e64 v24, v7, -v6
	v_pk_mov_b32 v[6:7], v[16:17], v[16:17] op_sel:[0,1]
	s_and_saveexec_b64 s[36:37], s[8:9]
	s_cbranch_execz .LBB21_36
; %bb.29:                               ;   in Loop: Header=BB21_13 Depth=1
	s_mul_i32 s12, s25, s20
	s_mul_i32 s13, s24, s21
	v_mov_b32_e32 v4, s20
	s_add_i32 s38, s13, s12
	v_mad_u64_u32 v[4:5], s[12:13], s24, v4, v[8:9]
	v_add_u32_e32 v5, s38, v5
	v_add_co_u32_e32 v6, vcc, v4, v10
	v_addc_co_u32_e32 v7, vcc, v5, v11, vcc
	v_cmp_ge_u64_e32 vcc, v[6:7], v[4:5]
	s_mov_b64 s[12:13], -1
	s_and_b64 s[40:41], vcc, s[22:23]
	v_pk_mov_b32 v[4:5], v[0:1], v[0:1] op_sel:[0,1]
	v_pk_mov_b32 v[6:7], v[16:17], v[16:17] op_sel:[0,1]
	s_and_saveexec_b64 s[38:39], s[40:41]
	s_cbranch_execz .LBB21_35
; %bb.30:                               ;   in Loop: Header=BB21_13 Depth=1
	v_pk_mov_b32 v[6:7], v[2:3], v[2:3] op_sel:[0,1]
	v_mov_b32_e32 v25, v24
	s_mov_b64 s[40:41], 0
	v_pk_mov_b32 v[26:27], v[12:13], v[12:13] op_sel:[0,1]
	v_pk_mov_b32 v[28:29], v[20:21], v[20:21] op_sel:[0,1]
	;; [unrolled: 1-line block ×3, first 2 shown]
.LBB21_31:                              ;   Parent Loop BB21_13 Depth=1
                                        ; =>  This Inner Loop Header: Depth=2
	global_load_dword v34, v[28:29], off offset:-512
	global_load_dword v35, v[28:29], off
	v_lshlrev_b32_e32 v36, 2, v4
	v_lshlrev_b32_e32 v37, 2, v6
	ds_read_b32 v36, v36
	ds_read_b32 v37, v37
	v_add_co_u32_e32 v6, vcc, s43, v6
	v_addc_co_u32_e32 v7, vcc, 0, v7, vcc
	v_add_co_u32_e64 v26, s[12:13], -2, v26
	v_add_co_u32_e32 v4, vcc, s43, v4
	v_addc_co_u32_e64 v27, s[12:13], -1, v27, s[12:13]
	v_addc_co_u32_e32 v5, vcc, 0, v5, vcc
	v_cmp_eq_u64_e64 s[12:13], 0, v[26:27]
	s_or_b64 s[40:41], s[12:13], s[40:41]
	s_waitcnt vmcnt(0) lgkmcnt(0)
	v_pk_fma_f32 v[34:35], v[24:25], v[36:37], v[34:35]
	global_store_dword v[28:29], v34, off offset:-512
	global_store_dword v[28:29], v35, off
	v_add_co_u32_e32 v28, vcc, 0x400, v28
	v_addc_co_u32_e32 v29, vcc, 0, v29, vcc
	s_andn2_b64 exec, exec, s[40:41]
	s_cbranch_execnz .LBB21_31
; %bb.32:                               ;   in Loop: Header=BB21_13 Depth=1
	s_or_b64 exec, exec, s[40:41]
	s_mov_b64 s[12:13], 0
	s_and_saveexec_b64 s[40:41], s[10:11]
	s_xor_b64 s[40:41], exec, s[40:41]
; %bb.33:                               ;   in Loop: Header=BB21_13 Depth=1
	s_mov_b64 s[12:13], exec
; %bb.34:                               ;   in Loop: Header=BB21_13 Depth=1
	s_or_b64 exec, exec, s[40:41]
	s_orn2_b64 s[12:13], s[12:13], exec
	v_pk_mov_b32 v[4:5], v[14:15], v[14:15] op_sel:[0,1]
	v_pk_mov_b32 v[6:7], v[22:23], v[22:23] op_sel:[0,1]
.LBB21_35:                              ;   in Loop: Header=BB21_13 Depth=1
	s_or_b64 exec, exec, s[38:39]
	s_andn2_b64 s[38:39], s[30:31], exec
	s_and_b64 s[12:13], s[12:13], exec
	s_or_b64 s[12:13], s[38:39], s[12:13]
.LBB21_36:                              ;   in Loop: Header=BB21_13 Depth=1
	s_or_b64 exec, exec, s[36:37]
	s_and_b64 exec, exec, s[12:13]
	s_cbranch_execz .LBB21_12
; %bb.37:                               ;   in Loop: Header=BB21_13 Depth=1
	v_mov_b32_e32 v26, s42
	v_add_co_u32_e32 v6, vcc, s33, v6
	v_lshlrev_b32_e32 v25, 2, v4
	v_addc_co_u32_e32 v7, vcc, v26, v7, vcc
	s_mov_b64 s[12:13], 0
.LBB21_38:                              ;   Parent Loop BB21_13 Depth=1
                                        ; =>  This Inner Loop Header: Depth=2
	global_load_dword v26, v[6:7], off
	ds_read_b32 v27, v25
	v_add_co_u32_e32 v4, vcc, 0x80, v4
	v_addc_co_u32_e32 v5, vcc, 0, v5, vcc
	v_cmp_le_i64_e32 vcc, s[16:17], v[4:5]
	s_or_b64 s[12:13], vcc, s[12:13]
	v_add_u32_e32 v25, 0x200, v25
	s_waitcnt vmcnt(0) lgkmcnt(0)
	v_fmac_f32_e32 v26, v24, v27
	global_store_dword v[6:7], v26, off
	v_add_co_u32_e32 v6, vcc, 0x200, v6
	v_addc_co_u32_e32 v7, vcc, 0, v7, vcc
	s_andn2_b64 exec, exec, s[12:13]
	s_cbranch_execnz .LBB21_38
	s_branch .LBB21_12
.LBB21_39:
	s_endpgm
	.section	.rodata,"a",@progbits
	.p2align	6, 0x0
	.amdhsa_kernel _ZN9rocsolver6v33100L22larf_left_kernel_smallILi128EflPfEEvT1_S3_T2_lS3_lPKT0_lS4_lS3_l
		.amdhsa_group_segment_fixed_size 8704
		.amdhsa_private_segment_fixed_size 0
		.amdhsa_kernarg_size 96
		.amdhsa_user_sgpr_count 6
		.amdhsa_user_sgpr_private_segment_buffer 1
		.amdhsa_user_sgpr_dispatch_ptr 0
		.amdhsa_user_sgpr_queue_ptr 0
		.amdhsa_user_sgpr_kernarg_segment_ptr 1
		.amdhsa_user_sgpr_dispatch_id 0
		.amdhsa_user_sgpr_flat_scratch_init 0
		.amdhsa_user_sgpr_kernarg_preload_length 0
		.amdhsa_user_sgpr_kernarg_preload_offset 0
		.amdhsa_user_sgpr_private_segment_size 0
		.amdhsa_uses_dynamic_stack 0
		.amdhsa_system_sgpr_private_segment_wavefront_offset 0
		.amdhsa_system_sgpr_workgroup_id_x 1
		.amdhsa_system_sgpr_workgroup_id_y 1
		.amdhsa_system_sgpr_workgroup_id_z 0
		.amdhsa_system_sgpr_workgroup_info 0
		.amdhsa_system_vgpr_workitem_id 0
		.amdhsa_next_free_vgpr 38
		.amdhsa_next_free_sgpr 44
		.amdhsa_accum_offset 40
		.amdhsa_reserve_vcc 1
		.amdhsa_reserve_flat_scratch 0
		.amdhsa_float_round_mode_32 0
		.amdhsa_float_round_mode_16_64 0
		.amdhsa_float_denorm_mode_32 3
		.amdhsa_float_denorm_mode_16_64 3
		.amdhsa_dx10_clamp 1
		.amdhsa_ieee_mode 1
		.amdhsa_fp16_overflow 0
		.amdhsa_tg_split 0
		.amdhsa_exception_fp_ieee_invalid_op 0
		.amdhsa_exception_fp_denorm_src 0
		.amdhsa_exception_fp_ieee_div_zero 0
		.amdhsa_exception_fp_ieee_overflow 0
		.amdhsa_exception_fp_ieee_underflow 0
		.amdhsa_exception_fp_ieee_inexact 0
		.amdhsa_exception_int_div_zero 0
	.end_amdhsa_kernel
	.section	.text._ZN9rocsolver6v33100L22larf_left_kernel_smallILi128EflPfEEvT1_S3_T2_lS3_lPKT0_lS4_lS3_l,"axG",@progbits,_ZN9rocsolver6v33100L22larf_left_kernel_smallILi128EflPfEEvT1_S3_T2_lS3_lPKT0_lS4_lS3_l,comdat
.Lfunc_end21:
	.size	_ZN9rocsolver6v33100L22larf_left_kernel_smallILi128EflPfEEvT1_S3_T2_lS3_lPKT0_lS4_lS3_l, .Lfunc_end21-_ZN9rocsolver6v33100L22larf_left_kernel_smallILi128EflPfEEvT1_S3_T2_lS3_lPKT0_lS4_lS3_l
                                        ; -- End function
	.section	.AMDGPU.csdata,"",@progbits
; Kernel info:
; codeLenInByte = 2200
; NumSgprs: 48
; NumVgprs: 38
; NumAgprs: 0
; TotalNumVgprs: 38
; ScratchSize: 0
; MemoryBound: 0
; FloatMode: 240
; IeeeMode: 1
; LDSByteSize: 8704 bytes/workgroup (compile time only)
; SGPRBlocks: 5
; VGPRBlocks: 4
; NumSGPRsForWavesPerEU: 48
; NumVGPRsForWavesPerEU: 38
; AccumOffset: 40
; Occupancy: 4
; WaveLimiterHint : 1
; COMPUTE_PGM_RSRC2:SCRATCH_EN: 0
; COMPUTE_PGM_RSRC2:USER_SGPR: 6
; COMPUTE_PGM_RSRC2:TRAP_HANDLER: 0
; COMPUTE_PGM_RSRC2:TGID_X_EN: 1
; COMPUTE_PGM_RSRC2:TGID_Y_EN: 1
; COMPUTE_PGM_RSRC2:TGID_Z_EN: 0
; COMPUTE_PGM_RSRC2:TIDIG_COMP_CNT: 0
; COMPUTE_PGM_RSRC3_GFX90A:ACCUM_OFFSET: 9
; COMPUTE_PGM_RSRC3_GFX90A:TG_SPLIT: 0
	.section	.text._ZN9rocsolver6v33100L22larf_left_kernel_smallILi256EflPfEEvT1_S3_T2_lS3_lPKT0_lS4_lS3_l,"axG",@progbits,_ZN9rocsolver6v33100L22larf_left_kernel_smallILi256EflPfEEvT1_S3_T2_lS3_lPKT0_lS4_lS3_l,comdat
	.globl	_ZN9rocsolver6v33100L22larf_left_kernel_smallILi256EflPfEEvT1_S3_T2_lS3_lPKT0_lS4_lS3_l ; -- Begin function _ZN9rocsolver6v33100L22larf_left_kernel_smallILi256EflPfEEvT1_S3_T2_lS3_lPKT0_lS4_lS3_l
	.p2align	8
	.type	_ZN9rocsolver6v33100L22larf_left_kernel_smallILi256EflPfEEvT1_S3_T2_lS3_lPKT0_lS4_lS3_l,@function
_ZN9rocsolver6v33100L22larf_left_kernel_smallILi256EflPfEEvT1_S3_T2_lS3_lPKT0_lS4_lS3_l: ; @_ZN9rocsolver6v33100L22larf_left_kernel_smallILi256EflPfEEvT1_S3_T2_lS3_lPKT0_lS4_lS3_l
; %bb.0:
	s_load_dwordx16 s[16:31], s[4:5], 0x0
	s_mov_b32 s14, s7
	s_mov_b64 s[10:11], 0
	s_waitcnt lgkmcnt(0)
	v_cmp_gt_i64_e64 s[0:1], s[24:25], 0
	s_and_b64 vcc, exec, s[0:1]
	s_cbranch_vccnz .LBB22_2
; %bb.1:
	s_sub_u32 s0, 1, s16
	s_subb_u32 s1, 0, s17
	s_mul_i32 s2, s0, s25
	s_mul_hi_u32 s3, s0, s24
	s_add_i32 s2, s3, s2
	s_mul_i32 s1, s1, s24
	s_add_i32 s11, s2, s1
	s_mul_i32 s10, s0, s24
.LBB22_2:
	v_mov_b32_e32 v1, 0
	s_mov_b32 s15, 0
	v_cmp_gt_i64_e64 s[0:1], s[16:17], v[0:1]
	v_not_b32_e32 v12, 0
	v_not_b32_e32 v13, v0
	s_and_saveexec_b64 s[8:9], s[0:1]
	s_cbranch_execz .LBB22_10
; %bb.3:
	s_mul_i32 s2, s6, s27
	s_mul_hi_u32 s3, s6, s26
	v_mov_b32_e32 v2, s17
	v_add_co_u32_e32 v4, vcc, s16, v13
	s_add_i32 s13, s3, s2
	v_addc_co_u32_e32 v5, vcc, v12, v2, vcc
	s_mov_b64 s[2:3], 0xff
	s_mul_i32 s12, s6, s26
	v_cmp_lt_u64_e32 vcc, s[2:3], v[4:5]
	s_mov_b64 s[2:3], -1
	v_pk_mov_b32 v[2:3], v[0:1], v[0:1] op_sel:[0,1]
	s_and_saveexec_b64 s[26:27], vcc
	s_cbranch_execz .LBB22_7
; %bb.4:
	s_lshl_b64 s[2:3], s[12:13], 2
	s_add_u32 s7, s20, s2
	s_addc_u32 s33, s21, s3
	s_lshl_b64 s[2:3], s[22:23], 2
	s_add_u32 s7, s7, s2
	v_lshrrev_b64 v[2:3], 8, v[4:5]
	s_addc_u32 s33, s33, s3
	s_lshl_b64 s[2:3], s[10:11], 2
	v_add_co_u32_e32 v6, vcc, 1, v2
	s_add_u32 s7, s7, s2
	v_addc_co_u32_e32 v7, vcc, 0, v3, vcc
	v_or_b32_e32 v2, 0x100, v0
	v_mov_b32_e32 v3, v1
	s_addc_u32 s2, s33, s3
	v_and_b32_e32 v8, -2, v6
	v_mov_b32_e32 v9, v7
	v_pk_mov_b32 v[4:5], v[2:3], v[2:3] op_sel:[0,1]
	s_mov_b32 s33, s24
	s_mov_b32 s36, s25
	s_mov_b64 s[34:35], 0
	v_mov_b32_e32 v14, s2
	s_movk_i32 s37, 0x200
	v_pk_mov_b32 v[10:11], v[8:9], v[8:9] op_sel:[0,1]
	v_pk_mov_b32 v[2:3], v[0:1], v[0:1] op_sel:[0,1]
.LBB22_5:                               ; =>This Inner Loop Header: Depth=1
	v_mul_lo_u32 v21, v3, s24
	v_mul_lo_u32 v22, v2, s25
	v_mad_u64_u32 v[18:19], s[2:3], v2, s24, 0
	v_add3_u32 v19, v19, v22, v21
	v_mul_lo_u32 v15, v5, s33
	v_mul_lo_u32 v20, v4, s36
	v_mad_u64_u32 v[16:17], s[2:3], v4, s33, 0
	v_lshlrev_b64 v[18:19], 2, v[18:19]
	v_add3_u32 v17, v17, v20, v15
	v_add_co_u32_e32 v18, vcc, s7, v18
	v_lshlrev_b64 v[16:17], 2, v[16:17]
	v_addc_co_u32_e32 v19, vcc, v14, v19, vcc
	v_add_co_u32_e32 v16, vcc, s7, v16
	v_addc_co_u32_e32 v17, vcc, v14, v17, vcc
	global_load_dword v15, v[18:19], off
	global_load_dword v20, v[16:17], off
	v_lshlrev_b32_e32 v17, 2, v4
	v_add_co_u32_e32 v4, vcc, s37, v4
	v_add_co_u32_e64 v10, s[2:3], -2, v10
	v_addc_co_u32_e64 v11, s[2:3], -1, v11, s[2:3]
	v_addc_co_u32_e32 v5, vcc, 0, v5, vcc
	v_lshlrev_b32_e32 v16, 2, v2
	v_add_co_u32_e32 v2, vcc, 0x200, v2
	v_cmp_eq_u64_e64 s[2:3], 0, v[10:11]
	v_addc_co_u32_e32 v3, vcc, 0, v3, vcc
	s_or_b64 s[34:35], s[2:3], s[34:35]
	s_waitcnt vmcnt(1)
	ds_write_b32 v16, v15
	s_waitcnt vmcnt(0)
	ds_write_b32 v17, v20
	s_andn2_b64 exec, exec, s[34:35]
	s_cbranch_execnz .LBB22_5
; %bb.6:
	s_or_b64 exec, exec, s[34:35]
	v_lshlrev_b64 v[2:3], 8, v[8:9]
	v_cmp_ne_u64_e32 vcc, v[6:7], v[8:9]
	v_or_b32_e32 v3, 0, v3
	v_or_b32_e32 v2, v2, v0
	s_orn2_b64 s[2:3], vcc, exec
.LBB22_7:
	s_or_b64 exec, exec, s[26:27]
	s_and_b64 exec, exec, s[2:3]
	s_cbranch_execz .LBB22_10
; %bb.8:
	v_mad_u64_u32 v[4:5], s[2:3], v2, s24, 0
	s_lshl_b64 s[2:3], s[12:13], 2
	s_lshl_b64 s[10:11], s[10:11], 2
	;; [unrolled: 1-line block ×3, first 2 shown]
	s_add_u32 s7, s20, s12
	s_addc_u32 s12, s21, s13
	s_add_u32 s7, s7, s10
	v_mul_lo_u32 v6, v3, s24
	v_mul_lo_u32 v7, v2, s25
	s_addc_u32 s10, s12, s11
	v_add3_u32 v5, v5, v7, v6
	s_add_u32 s2, s7, s2
	v_lshlrev_b64 v[4:5], 2, v[4:5]
	s_addc_u32 s3, s10, s3
	v_mov_b32_e32 v6, s3
	v_add_co_u32_e32 v4, vcc, s2, v4
	s_lshl_b64 s[10:11], s[24:25], 10
	v_addc_co_u32_e32 v5, vcc, v6, v5, vcc
	v_lshlrev_b32_e32 v6, 2, v2
	s_mov_b64 s[12:13], 0
	v_mov_b32_e32 v7, s11
.LBB22_9:                               ; =>This Inner Loop Header: Depth=1
	global_load_dword v8, v[4:5], off
	v_add_co_u32_e32 v2, vcc, 0x100, v2
	v_addc_co_u32_e32 v3, vcc, 0, v3, vcc
	v_add_co_u32_e64 v4, s[2:3], s10, v4
	v_cmp_le_i64_e32 vcc, s[16:17], v[2:3]
	v_addc_co_u32_e64 v5, s[2:3], v5, v7, s[2:3]
	s_or_b64 s[12:13], vcc, s[12:13]
	s_waitcnt vmcnt(0)
	ds_write_b32 v6, v8
	v_add_u32_e32 v6, 0x400, v6
	s_andn2_b64 exec, exec, s[12:13]
	s_cbranch_execnz .LBB22_9
.LBB22_10:
	s_or_b64 exec, exec, s[8:9]
	v_pk_mov_b32 v[2:3], s[18:19], s[18:19] op_sel:[0,1]
	v_cmp_ge_i64_e32 vcc, s[14:15], v[2:3]
	s_waitcnt lgkmcnt(0)
	s_barrier
	s_cbranch_vccnz .LBB22_39
; %bb.11:
	s_load_dwordx8 s[20:27], s[4:5], 0x40
	s_mul_i32 s2, s6, s31
	s_mul_hi_u32 s3, s6, s30
	s_add_i32 s3, s3, s2
	s_mul_i32 s2, s6, s30
	s_waitcnt lgkmcnt(0)
	s_mul_i32 s4, s6, s27
	s_mul_hi_u32 s5, s6, s26
	s_add_i32 s13, s5, s4
	s_lshl_b64 s[2:3], s[2:3], 2
	s_mul_i32 s12, s6, s26
	s_add_u32 s26, s28, s2
	s_addc_u32 s27, s29, s3
	s_cmp_gt_i32 s16, 1
	s_mul_i32 s8, s14, s25
	s_mul_hi_u32 s9, s14, s24
	s_cselect_b64 s[28:29], -1, 0
	s_add_i32 s35, s9, s8
	s_mul_i32 s34, s14, s24
	s_add_u32 s8, s12, s34
	s_addc_u32 s9, s13, s35
	s_add_u32 s8, s8, s22
	v_and_b32_e32 v2, 63, v0
	s_addc_u32 s9, s9, s23
	s_lshl_b64 s[24:25], s[24:25], 8
	s_lshl_b64 s[12:13], s[12:13], 2
	;; [unrolled: 1-line block ×3, first 2 shown]
	v_cmp_eq_u32_e64 s[4:5], 0, v2
	v_mov_b32_e32 v3, s17
	v_add_co_u32_e32 v2, vcc, s16, v13
	s_add_u32 s33, s12, s34
	v_addc_co_u32_e32 v3, vcc, v12, v3, vcc
	s_addc_u32 s34, s13, s35
	s_lshl_b64 s[12:13], s[22:23], 2
	v_mov_b32_e32 v5, s9
	v_add_co_u32_e32 v4, vcc, s8, v0
	s_add_u32 s12, s33, s12
	v_addc_co_u32_e32 v5, vcc, 0, v5, vcc
	v_lshrrev_b64 v[6:7], 8, v[2:3]
	s_addc_u32 s13, s34, s13
	v_add_co_u32_e32 v6, vcc, 1, v6
	s_add_u32 s33, s20, s12
	v_lshlrev_b64 v[4:5], 2, v[4:5]
	v_addc_co_u32_e32 v7, vcc, 0, v7, vcc
	v_lshlrev_b32_e32 v16, 2, v0
	s_addc_u32 s42, s21, s13
	v_add_co_u32_e32 v8, vcc, s20, v4
	v_mov_b32_e32 v4, s42
	v_add_co_u32_e64 v18, s[12:13], s33, v16
	v_mov_b32_e32 v9, s21
	s_mov_b64 s[8:9], 0x2100
	s_mov_b32 s10, -1
	v_addc_co_u32_e64 v19, s[12:13], 0, v4, s[12:13]
	v_addc_co_u32_e32 v9, vcc, v9, v5, vcc
	v_cmp_gt_u64_e64 s[30:31], s[8:9], v[2:3]
	s_mov_b64 s[8:9], 0x20ff
	s_brev_b32 s11, -4
	v_and_b32_e32 v12, -2, v6
	v_mov_b32_e32 v13, v7
	s_movk_i32 s12, 0x400
	v_mbcnt_lo_u32_b32 v4, -1, 0
	v_cmp_lt_u64_e64 s[8:9], s[8:9], v[2:3]
	v_lshlrev_b64 v[10:11], 2, v[2:3]
	v_cmp_lt_u64_e32 vcc, s[10:11], v[2:3]
	v_lshlrev_b64 v[2:3], 8, v[12:13]
	v_add_co_u32_e64 v20, s[12:13], s12, v18
	v_mbcnt_hi_u32_b32 v31, -1, v4
	v_cmp_gt_i32_e64 s[2:3], s16, v0
	v_lshrrev_b32_e32 v28, 4, v0
	v_cmp_eq_u32_e64 s[6:7], 0, v0
	v_and_b32_e32 v10, 0xfffffc00, v10
	v_or_b32_e32 v15, 0, v3
	v_or_b32_e32 v14, v2, v0
	;; [unrolled: 1-line block ×3, first 2 shown]
	v_mov_b32_e32 v3, v1
	v_cmp_ne_u64_e64 s[10:11], v[6:7], v[12:13]
	v_lshlrev_b32_e32 v29, 2, v0
	v_mov_b32_e32 v17, 0
	v_addc_co_u32_e64 v21, s[12:13], 0, v19, s[12:13]
	s_mov_b64 s[20:21], 0
	v_mov_b32_e32 v30, 0x2004
	v_and_b32_e32 v32, 63, v31
	s_xor_b64 s[22:23], vcc, -1
	s_movk_i32 s43, 0x200
	s_branch .LBB22_13
.LBB22_12:                              ;   in Loop: Header=BB22_13 Depth=1
	s_or_b64 exec, exec, s[34:35]
	s_add_u32 s14, s14, 64
	v_mov_b32_e32 v4, s25
	v_add_co_u32_e32 v18, vcc, s24, v18
	s_addc_u32 s15, s15, 0
	v_addc_co_u32_e32 v19, vcc, v19, v4, vcc
	s_add_u32 s20, s20, 1
	v_add_co_u32_e32 v20, vcc, s24, v20
	s_addc_u32 s21, s21, 0
	v_addc_co_u32_e32 v21, vcc, v21, v4, vcc
	v_pk_mov_b32 v[4:5], s[18:19], s[18:19] op_sel:[0,1]
	s_add_u32 s33, s33, s24
	v_cmp_ge_i64_e32 vcc, s[14:15], v[4:5]
	s_addc_u32 s42, s42, s25
	s_cbranch_vccnz .LBB22_39
.LBB22_13:                              ; =>This Loop Header: Depth=1
                                        ;     Child Loop BB22_15 Depth 2
                                        ;     Child Loop BB22_31 Depth 2
	;; [unrolled: 1-line block ×3, first 2 shown]
	v_mov_b32_e32 v6, 0
	s_and_saveexec_b64 s[12:13], s[2:3]
	s_cbranch_execz .LBB22_17
; %bb.14:                               ;   in Loop: Header=BB22_13 Depth=1
	s_mov_b64 s[34:35], 0
	v_mov_b32_e32 v6, 0
	v_pk_mov_b32 v[4:5], v[18:19], v[18:19] op_sel:[0,1]
	v_mov_b32_e32 v7, v29
	v_mov_b32_e32 v22, v0
.LBB22_15:                              ;   Parent Loop BB22_13 Depth=1
                                        ; =>  This Inner Loop Header: Depth=2
	global_load_dword v23, v[4:5], off
	ds_read_b32 v24, v7
	v_add_co_u32_e32 v4, vcc, 0x400, v4
	v_add_u32_e32 v22, 0x100, v22
	v_addc_co_u32_e32 v5, vcc, 0, v5, vcc
	v_cmp_le_i32_e32 vcc, s16, v22
	v_add_u32_e32 v7, 0x400, v7
	s_or_b64 s[34:35], vcc, s[34:35]
	s_waitcnt vmcnt(0) lgkmcnt(0)
	v_mul_f32_e32 v23, v24, v23
	v_add_f32_e32 v6, v6, v23
	s_andn2_b64 exec, exec, s[34:35]
	s_cbranch_execnz .LBB22_15
; %bb.16:                               ;   in Loop: Header=BB22_13 Depth=1
	s_or_b64 exec, exec, s[34:35]
.LBB22_17:                              ;   in Loop: Header=BB22_13 Depth=1
	s_or_b64 exec, exec, s[12:13]
	s_and_b64 vcc, exec, s[28:29]
	s_cbranch_vccz .LBB22_24
; %bb.18:                               ;   in Loop: Header=BB22_13 Depth=1
	v_cmp_ne_u32_e32 vcc, 63, v32
	v_addc_co_u32_e32 v4, vcc, 0, v31, vcc
	v_lshlrev_b32_e32 v4, 2, v4
	ds_bpermute_b32 v4, v4, v6
	v_cmp_gt_u32_e32 vcc, 62, v32
	v_cndmask_b32_e64 v5, 0, 1, vcc
	v_lshlrev_b32_e32 v5, 1, v5
	v_add_lshl_u32 v5, v5, v31, 2
	s_waitcnt lgkmcnt(0)
	v_add_f32_e32 v4, v6, v4
	ds_bpermute_b32 v5, v5, v4
	v_cmp_gt_u32_e32 vcc, 60, v32
	v_cndmask_b32_e64 v7, 0, 1, vcc
	v_cmp_gt_u32_e32 vcc, 56, v32
	s_waitcnt lgkmcnt(0)
	v_add_f32_e32 v4, v4, v5
	v_lshlrev_b32_e32 v5, 2, v7
	v_add_lshl_u32 v5, v5, v31, 2
	ds_bpermute_b32 v5, v5, v4
	v_cndmask_b32_e64 v7, 0, 1, vcc
	v_cmp_gt_u32_e32 vcc, 48, v32
	s_waitcnt lgkmcnt(0)
	v_add_f32_e32 v4, v4, v5
	v_lshlrev_b32_e32 v5, 3, v7
	v_add_lshl_u32 v5, v5, v31, 2
	ds_bpermute_b32 v5, v5, v4
	;; [unrolled: 7-line block ×3, first 2 shown]
	v_cndmask_b32_e64 v7, 0, 1, vcc
	s_waitcnt lgkmcnt(0)
	v_add_f32_e32 v4, v4, v5
	v_lshlrev_b32_e32 v5, 5, v7
	v_add_lshl_u32 v5, v5, v31, 2
	ds_bpermute_b32 v5, v5, v4
	s_waitcnt lgkmcnt(0)
	v_add_f32_e32 v5, v4, v5
	s_and_saveexec_b64 s[12:13], s[4:5]
	s_cbranch_execz .LBB22_20
; %bb.19:                               ;   in Loop: Header=BB22_13 Depth=1
	ds_write_b32 v28, v5 offset:8192
.LBB22_20:                              ;   in Loop: Header=BB22_13 Depth=1
	s_or_b64 exec, exec, s[12:13]
	s_mov_b64 s[34:35], 0
	s_mov_b64 s[12:13], 0
	s_waitcnt lgkmcnt(0)
	s_barrier
	s_waitcnt lgkmcnt(0)
                                        ; implicit-def: $vgpr4
	s_and_saveexec_b64 s[36:37], s[6:7]
	s_xor_b64 s[36:37], exec, s[36:37]
	s_cbranch_execz .LBB22_22
; %bb.21:                               ;   in Loop: Header=BB22_13 Depth=1
	ds_read2_b32 v[22:23], v30 offset1:1
	ds_read_b32 v4, v17 offset:8204
	s_mov_b64 s[12:13], exec
	s_waitcnt lgkmcnt(1)
	v_add_f32_e32 v5, v5, v22
	v_add_f32_e32 v5, v5, v23
	s_waitcnt lgkmcnt(0)
	v_add_f32_e32 v4, v5, v4
.LBB22_22:                              ;   in Loop: Header=BB22_13 Depth=1
	s_or_b64 exec, exec, s[36:37]
	s_and_b64 vcc, exec, s[34:35]
	s_cbranch_vccnz .LBB22_25
.LBB22_23:                              ;   in Loop: Header=BB22_13 Depth=1
	v_mov_b32_e32 v6, v4
	s_and_saveexec_b64 s[34:35], s[12:13]
	s_cbranch_execnz .LBB22_26
	s_branch .LBB22_27
.LBB22_24:                              ;   in Loop: Header=BB22_13 Depth=1
	s_mov_b64 s[12:13], 0
                                        ; implicit-def: $vgpr4
	s_cbranch_execz .LBB22_23
.LBB22_25:                              ;   in Loop: Header=BB22_13 Depth=1
	s_andn2_b64 s[12:13], s[12:13], exec
	s_and_b64 s[34:35], s[6:7], exec
	s_or_b64 s[12:13], s[12:13], s[34:35]
	s_and_saveexec_b64 s[34:35], s[12:13]
	s_cbranch_execz .LBB22_27
.LBB22_26:                              ;   in Loop: Header=BB22_13 Depth=1
	ds_write_b32 v17, v6 offset:8192
.LBB22_27:                              ;   in Loop: Header=BB22_13 Depth=1
	s_or_b64 exec, exec, s[34:35]
	s_waitcnt lgkmcnt(0)
	s_barrier
	s_and_saveexec_b64 s[34:35], s[0:1]
	s_cbranch_execz .LBB22_12
; %bb.28:                               ;   in Loop: Header=BB22_13 Depth=1
	global_load_dword v6, v17, s[26:27]
	ds_read_b32 v7, v17 offset:8192
	s_mov_b64 s[12:13], s[30:31]
	v_pk_mov_b32 v[4:5], v[0:1], v[0:1] op_sel:[0,1]
	s_waitcnt vmcnt(0) lgkmcnt(0)
	v_mul_f32_e64 v22, v7, -v6
	v_pk_mov_b32 v[6:7], v[16:17], v[16:17] op_sel:[0,1]
	s_and_saveexec_b64 s[36:37], s[8:9]
	s_cbranch_execz .LBB22_36
; %bb.29:                               ;   in Loop: Header=BB22_13 Depth=1
	s_mul_i32 s12, s25, s20
	s_mul_i32 s13, s24, s21
	v_mov_b32_e32 v4, s20
	s_add_i32 s38, s13, s12
	v_mad_u64_u32 v[4:5], s[12:13], s24, v4, v[8:9]
	v_add_u32_e32 v5, s38, v5
	v_add_co_u32_e32 v6, vcc, v4, v10
	v_addc_co_u32_e32 v7, vcc, v5, v11, vcc
	v_cmp_ge_u64_e32 vcc, v[6:7], v[4:5]
	s_mov_b64 s[12:13], -1
	s_and_b64 s[40:41], vcc, s[22:23]
	v_pk_mov_b32 v[4:5], v[0:1], v[0:1] op_sel:[0,1]
	v_pk_mov_b32 v[6:7], v[16:17], v[16:17] op_sel:[0,1]
	s_and_saveexec_b64 s[38:39], s[40:41]
	s_cbranch_execz .LBB22_35
; %bb.30:                               ;   in Loop: Header=BB22_13 Depth=1
	v_pk_mov_b32 v[6:7], v[2:3], v[2:3] op_sel:[0,1]
	v_mov_b32_e32 v23, v22
	s_mov_b64 s[40:41], 0
	v_pk_mov_b32 v[24:25], v[12:13], v[12:13] op_sel:[0,1]
	v_pk_mov_b32 v[26:27], v[20:21], v[20:21] op_sel:[0,1]
	;; [unrolled: 1-line block ×3, first 2 shown]
.LBB22_31:                              ;   Parent Loop BB22_13 Depth=1
                                        ; =>  This Inner Loop Header: Depth=2
	global_load_dword v34, v[26:27], off offset:-1024
	global_load_dword v35, v[26:27], off
	v_lshlrev_b32_e32 v33, 2, v4
	v_lshlrev_b32_e32 v37, 2, v6
	ds_read_b32 v36, v33
	ds_read_b32 v37, v37
	v_add_co_u32_e32 v6, vcc, s43, v6
	v_addc_co_u32_e32 v7, vcc, 0, v7, vcc
	v_add_co_u32_e64 v24, s[12:13], -2, v24
	v_add_co_u32_e32 v4, vcc, s43, v4
	v_addc_co_u32_e64 v25, s[12:13], -1, v25, s[12:13]
	v_addc_co_u32_e32 v5, vcc, 0, v5, vcc
	v_cmp_eq_u64_e64 s[12:13], 0, v[24:25]
	s_or_b64 s[40:41], s[12:13], s[40:41]
	s_waitcnt vmcnt(0) lgkmcnt(0)
	v_pk_fma_f32 v[34:35], v[22:23], v[36:37], v[34:35]
	global_store_dword v[26:27], v34, off offset:-1024
	global_store_dword v[26:27], v35, off
	v_add_co_u32_e32 v26, vcc, 0x800, v26
	v_addc_co_u32_e32 v27, vcc, 0, v27, vcc
	s_andn2_b64 exec, exec, s[40:41]
	s_cbranch_execnz .LBB22_31
; %bb.32:                               ;   in Loop: Header=BB22_13 Depth=1
	s_or_b64 exec, exec, s[40:41]
	s_mov_b64 s[12:13], 0
                                        ; implicit-def: $vgpr6_vgpr7
	s_and_saveexec_b64 s[40:41], s[10:11]
	s_xor_b64 s[40:41], exec, s[40:41]
; %bb.33:                               ;   in Loop: Header=BB22_13 Depth=1
	s_mov_b64 s[12:13], exec
	v_lshlrev_b64 v[6:7], 2, v[14:15]
; %bb.34:                               ;   in Loop: Header=BB22_13 Depth=1
	s_or_b64 exec, exec, s[40:41]
	s_orn2_b64 s[12:13], s[12:13], exec
	v_pk_mov_b32 v[4:5], v[14:15], v[14:15] op_sel:[0,1]
.LBB22_35:                              ;   in Loop: Header=BB22_13 Depth=1
	s_or_b64 exec, exec, s[38:39]
	s_andn2_b64 s[38:39], s[30:31], exec
	s_and_b64 s[12:13], s[12:13], exec
	s_or_b64 s[12:13], s[38:39], s[12:13]
.LBB22_36:                              ;   in Loop: Header=BB22_13 Depth=1
	s_or_b64 exec, exec, s[36:37]
	s_and_b64 exec, exec, s[12:13]
	s_cbranch_execz .LBB22_12
; %bb.37:                               ;   in Loop: Header=BB22_13 Depth=1
	v_mov_b32_e32 v24, s42
	v_add_co_u32_e32 v6, vcc, s33, v6
	v_lshlrev_b32_e32 v23, 2, v4
	v_addc_co_u32_e32 v7, vcc, v24, v7, vcc
	s_mov_b64 s[12:13], 0
.LBB22_38:                              ;   Parent Loop BB22_13 Depth=1
                                        ; =>  This Inner Loop Header: Depth=2
	global_load_dword v24, v[6:7], off
	ds_read_b32 v25, v23
	v_add_co_u32_e32 v4, vcc, 0x100, v4
	v_addc_co_u32_e32 v5, vcc, 0, v5, vcc
	v_cmp_le_i64_e32 vcc, s[16:17], v[4:5]
	s_or_b64 s[12:13], vcc, s[12:13]
	v_add_u32_e32 v23, 0x400, v23
	s_waitcnt vmcnt(0) lgkmcnt(0)
	v_fmac_f32_e32 v24, v22, v25
	global_store_dword v[6:7], v24, off
	v_add_co_u32_e32 v6, vcc, 0x400, v6
	v_addc_co_u32_e32 v7, vcc, 0, v7, vcc
	s_andn2_b64 exec, exec, s[12:13]
	s_cbranch_execnz .LBB22_38
	s_branch .LBB22_12
.LBB22_39:
	s_endpgm
	.section	.rodata,"a",@progbits
	.p2align	6, 0x0
	.amdhsa_kernel _ZN9rocsolver6v33100L22larf_left_kernel_smallILi256EflPfEEvT1_S3_T2_lS3_lPKT0_lS4_lS3_l
		.amdhsa_group_segment_fixed_size 9216
		.amdhsa_private_segment_fixed_size 0
		.amdhsa_kernarg_size 96
		.amdhsa_user_sgpr_count 6
		.amdhsa_user_sgpr_private_segment_buffer 1
		.amdhsa_user_sgpr_dispatch_ptr 0
		.amdhsa_user_sgpr_queue_ptr 0
		.amdhsa_user_sgpr_kernarg_segment_ptr 1
		.amdhsa_user_sgpr_dispatch_id 0
		.amdhsa_user_sgpr_flat_scratch_init 0
		.amdhsa_user_sgpr_kernarg_preload_length 0
		.amdhsa_user_sgpr_kernarg_preload_offset 0
		.amdhsa_user_sgpr_private_segment_size 0
		.amdhsa_uses_dynamic_stack 0
		.amdhsa_system_sgpr_private_segment_wavefront_offset 0
		.amdhsa_system_sgpr_workgroup_id_x 1
		.amdhsa_system_sgpr_workgroup_id_y 1
		.amdhsa_system_sgpr_workgroup_id_z 0
		.amdhsa_system_sgpr_workgroup_info 0
		.amdhsa_system_vgpr_workitem_id 0
		.amdhsa_next_free_vgpr 38
		.amdhsa_next_free_sgpr 44
		.amdhsa_accum_offset 40
		.amdhsa_reserve_vcc 1
		.amdhsa_reserve_flat_scratch 0
		.amdhsa_float_round_mode_32 0
		.amdhsa_float_round_mode_16_64 0
		.amdhsa_float_denorm_mode_32 3
		.amdhsa_float_denorm_mode_16_64 3
		.amdhsa_dx10_clamp 1
		.amdhsa_ieee_mode 1
		.amdhsa_fp16_overflow 0
		.amdhsa_tg_split 0
		.amdhsa_exception_fp_ieee_invalid_op 0
		.amdhsa_exception_fp_denorm_src 0
		.amdhsa_exception_fp_ieee_div_zero 0
		.amdhsa_exception_fp_ieee_overflow 0
		.amdhsa_exception_fp_ieee_underflow 0
		.amdhsa_exception_fp_ieee_inexact 0
		.amdhsa_exception_int_div_zero 0
	.end_amdhsa_kernel
	.section	.text._ZN9rocsolver6v33100L22larf_left_kernel_smallILi256EflPfEEvT1_S3_T2_lS3_lPKT0_lS4_lS3_l,"axG",@progbits,_ZN9rocsolver6v33100L22larf_left_kernel_smallILi256EflPfEEvT1_S3_T2_lS3_lPKT0_lS4_lS3_l,comdat
.Lfunc_end22:
	.size	_ZN9rocsolver6v33100L22larf_left_kernel_smallILi256EflPfEEvT1_S3_T2_lS3_lPKT0_lS4_lS3_l, .Lfunc_end22-_ZN9rocsolver6v33100L22larf_left_kernel_smallILi256EflPfEEvT1_S3_T2_lS3_lPKT0_lS4_lS3_l
                                        ; -- End function
	.section	.AMDGPU.csdata,"",@progbits
; Kernel info:
; codeLenInByte = 2220
; NumSgprs: 48
; NumVgprs: 38
; NumAgprs: 0
; TotalNumVgprs: 38
; ScratchSize: 0
; MemoryBound: 0
; FloatMode: 240
; IeeeMode: 1
; LDSByteSize: 9216 bytes/workgroup (compile time only)
; SGPRBlocks: 5
; VGPRBlocks: 4
; NumSGPRsForWavesPerEU: 48
; NumVGPRsForWavesPerEU: 38
; AccumOffset: 40
; Occupancy: 7
; WaveLimiterHint : 1
; COMPUTE_PGM_RSRC2:SCRATCH_EN: 0
; COMPUTE_PGM_RSRC2:USER_SGPR: 6
; COMPUTE_PGM_RSRC2:TRAP_HANDLER: 0
; COMPUTE_PGM_RSRC2:TGID_X_EN: 1
; COMPUTE_PGM_RSRC2:TGID_Y_EN: 1
; COMPUTE_PGM_RSRC2:TGID_Z_EN: 0
; COMPUTE_PGM_RSRC2:TIDIG_COMP_CNT: 0
; COMPUTE_PGM_RSRC3_GFX90A:ACCUM_OFFSET: 9
; COMPUTE_PGM_RSRC3_GFX90A:TG_SPLIT: 0
	.section	.text._ZN9rocsolver6v33100L22larf_left_kernel_smallILi512EflPfEEvT1_S3_T2_lS3_lPKT0_lS4_lS3_l,"axG",@progbits,_ZN9rocsolver6v33100L22larf_left_kernel_smallILi512EflPfEEvT1_S3_T2_lS3_lPKT0_lS4_lS3_l,comdat
	.globl	_ZN9rocsolver6v33100L22larf_left_kernel_smallILi512EflPfEEvT1_S3_T2_lS3_lPKT0_lS4_lS3_l ; -- Begin function _ZN9rocsolver6v33100L22larf_left_kernel_smallILi512EflPfEEvT1_S3_T2_lS3_lPKT0_lS4_lS3_l
	.p2align	8
	.type	_ZN9rocsolver6v33100L22larf_left_kernel_smallILi512EflPfEEvT1_S3_T2_lS3_lPKT0_lS4_lS3_l,@function
_ZN9rocsolver6v33100L22larf_left_kernel_smallILi512EflPfEEvT1_S3_T2_lS3_lPKT0_lS4_lS3_l: ; @_ZN9rocsolver6v33100L22larf_left_kernel_smallILi512EflPfEEvT1_S3_T2_lS3_lPKT0_lS4_lS3_l
; %bb.0:
	s_load_dwordx16 s[16:31], s[4:5], 0x0
	s_mov_b32 s14, s7
	s_mov_b64 s[10:11], 0
	s_waitcnt lgkmcnt(0)
	v_cmp_gt_i64_e64 s[0:1], s[24:25], 0
	s_and_b64 vcc, exec, s[0:1]
	s_cbranch_vccnz .LBB23_2
; %bb.1:
	s_sub_u32 s0, 1, s16
	s_subb_u32 s1, 0, s17
	s_mul_i32 s2, s0, s25
	s_mul_hi_u32 s3, s0, s24
	s_add_i32 s2, s3, s2
	s_mul_i32 s1, s1, s24
	s_add_i32 s11, s2, s1
	s_mul_i32 s10, s0, s24
.LBB23_2:
	v_mov_b32_e32 v1, 0
	s_mov_b32 s15, 0
	v_cmp_gt_i64_e64 s[0:1], s[16:17], v[0:1]
	v_not_b32_e32 v12, 0
	v_not_b32_e32 v13, v0
	s_and_saveexec_b64 s[8:9], s[0:1]
	s_cbranch_execz .LBB23_10
; %bb.3:
	s_mul_i32 s2, s6, s27
	s_mul_hi_u32 s3, s6, s26
	v_mov_b32_e32 v2, s17
	v_add_co_u32_e32 v4, vcc, s16, v13
	s_add_i32 s13, s3, s2
	v_addc_co_u32_e32 v5, vcc, v12, v2, vcc
	s_mov_b64 s[2:3], 0x1ff
	s_mul_i32 s12, s6, s26
	v_cmp_lt_u64_e32 vcc, s[2:3], v[4:5]
	s_mov_b64 s[2:3], -1
	v_pk_mov_b32 v[2:3], v[0:1], v[0:1] op_sel:[0,1]
	s_and_saveexec_b64 s[26:27], vcc
	s_cbranch_execz .LBB23_7
; %bb.4:
	s_lshl_b64 s[2:3], s[12:13], 2
	s_add_u32 s7, s20, s2
	s_addc_u32 s33, s21, s3
	s_lshl_b64 s[2:3], s[22:23], 2
	s_add_u32 s7, s7, s2
	v_lshrrev_b64 v[2:3], 9, v[4:5]
	s_addc_u32 s33, s33, s3
	s_lshl_b64 s[2:3], s[10:11], 2
	v_add_co_u32_e32 v6, vcc, 1, v2
	s_add_u32 s7, s7, s2
	v_addc_co_u32_e32 v7, vcc, 0, v3, vcc
	v_or_b32_e32 v2, 0x200, v0
	v_mov_b32_e32 v3, v1
	s_addc_u32 s2, s33, s3
	v_and_b32_e32 v8, -2, v6
	v_mov_b32_e32 v9, v7
	v_pk_mov_b32 v[4:5], v[2:3], v[2:3] op_sel:[0,1]
	s_mov_b32 s33, s24
	s_mov_b32 s36, s25
	s_mov_b64 s[34:35], 0
	v_mov_b32_e32 v14, s2
	s_movk_i32 s37, 0x400
	v_pk_mov_b32 v[10:11], v[8:9], v[8:9] op_sel:[0,1]
	v_pk_mov_b32 v[2:3], v[0:1], v[0:1] op_sel:[0,1]
.LBB23_5:                               ; =>This Inner Loop Header: Depth=1
	v_mul_lo_u32 v21, v3, s24
	v_mul_lo_u32 v22, v2, s25
	v_mad_u64_u32 v[18:19], s[2:3], v2, s24, 0
	v_add3_u32 v19, v19, v22, v21
	v_mul_lo_u32 v15, v5, s33
	v_mul_lo_u32 v20, v4, s36
	v_mad_u64_u32 v[16:17], s[2:3], v4, s33, 0
	v_lshlrev_b64 v[18:19], 2, v[18:19]
	v_add3_u32 v17, v17, v20, v15
	v_add_co_u32_e32 v18, vcc, s7, v18
	v_lshlrev_b64 v[16:17], 2, v[16:17]
	v_addc_co_u32_e32 v19, vcc, v14, v19, vcc
	v_add_co_u32_e32 v16, vcc, s7, v16
	v_addc_co_u32_e32 v17, vcc, v14, v17, vcc
	global_load_dword v15, v[18:19], off
	global_load_dword v20, v[16:17], off
	v_lshlrev_b32_e32 v17, 2, v4
	v_add_co_u32_e32 v4, vcc, s37, v4
	v_add_co_u32_e64 v10, s[2:3], -2, v10
	v_addc_co_u32_e64 v11, s[2:3], -1, v11, s[2:3]
	v_addc_co_u32_e32 v5, vcc, 0, v5, vcc
	v_lshlrev_b32_e32 v16, 2, v2
	v_add_co_u32_e32 v2, vcc, 0x400, v2
	v_cmp_eq_u64_e64 s[2:3], 0, v[10:11]
	v_addc_co_u32_e32 v3, vcc, 0, v3, vcc
	s_or_b64 s[34:35], s[2:3], s[34:35]
	s_waitcnt vmcnt(1)
	ds_write_b32 v16, v15
	s_waitcnt vmcnt(0)
	ds_write_b32 v17, v20
	s_andn2_b64 exec, exec, s[34:35]
	s_cbranch_execnz .LBB23_5
; %bb.6:
	s_or_b64 exec, exec, s[34:35]
	v_lshlrev_b64 v[2:3], 9, v[8:9]
	v_cmp_ne_u64_e32 vcc, v[6:7], v[8:9]
	v_or_b32_e32 v3, 0, v3
	v_or_b32_e32 v2, v2, v0
	s_orn2_b64 s[2:3], vcc, exec
.LBB23_7:
	s_or_b64 exec, exec, s[26:27]
	s_and_b64 exec, exec, s[2:3]
	s_cbranch_execz .LBB23_10
; %bb.8:
	v_mad_u64_u32 v[4:5], s[2:3], v2, s24, 0
	s_lshl_b64 s[2:3], s[12:13], 2
	s_lshl_b64 s[10:11], s[10:11], 2
	;; [unrolled: 1-line block ×3, first 2 shown]
	s_add_u32 s7, s20, s12
	s_addc_u32 s12, s21, s13
	s_add_u32 s7, s7, s10
	v_mul_lo_u32 v6, v3, s24
	v_mul_lo_u32 v7, v2, s25
	s_addc_u32 s10, s12, s11
	v_add3_u32 v5, v5, v7, v6
	s_add_u32 s2, s7, s2
	v_lshlrev_b64 v[4:5], 2, v[4:5]
	s_addc_u32 s3, s10, s3
	v_mov_b32_e32 v6, s3
	v_add_co_u32_e32 v4, vcc, s2, v4
	s_lshl_b64 s[10:11], s[24:25], 11
	v_addc_co_u32_e32 v5, vcc, v6, v5, vcc
	v_lshlrev_b32_e32 v6, 2, v2
	s_mov_b64 s[12:13], 0
	v_mov_b32_e32 v7, s11
.LBB23_9:                               ; =>This Inner Loop Header: Depth=1
	global_load_dword v8, v[4:5], off
	v_add_co_u32_e32 v2, vcc, 0x200, v2
	v_addc_co_u32_e32 v3, vcc, 0, v3, vcc
	v_add_co_u32_e64 v4, s[2:3], s10, v4
	v_cmp_le_i64_e32 vcc, s[16:17], v[2:3]
	v_addc_co_u32_e64 v5, s[2:3], v5, v7, s[2:3]
	s_or_b64 s[12:13], vcc, s[12:13]
	s_waitcnt vmcnt(0)
	ds_write_b32 v6, v8
	v_add_u32_e32 v6, 0x800, v6
	s_andn2_b64 exec, exec, s[12:13]
	s_cbranch_execnz .LBB23_9
.LBB23_10:
	s_or_b64 exec, exec, s[8:9]
	v_pk_mov_b32 v[2:3], s[18:19], s[18:19] op_sel:[0,1]
	v_cmp_ge_i64_e32 vcc, s[14:15], v[2:3]
	s_waitcnt lgkmcnt(0)
	s_barrier
	s_cbranch_vccnz .LBB23_39
; %bb.11:
	s_load_dwordx8 s[20:27], s[4:5], 0x40
	s_mul_i32 s2, s6, s31
	s_mul_hi_u32 s3, s6, s30
	s_add_i32 s3, s3, s2
	s_mul_i32 s2, s6, s30
	s_waitcnt lgkmcnt(0)
	s_mul_i32 s4, s6, s27
	s_mul_hi_u32 s5, s6, s26
	s_add_i32 s13, s5, s4
	s_lshl_b64 s[2:3], s[2:3], 2
	s_mul_i32 s12, s6, s26
	s_add_u32 s26, s28, s2
	s_addc_u32 s27, s29, s3
	s_cmp_gt_i32 s16, 1
	s_mul_i32 s8, s14, s25
	s_mul_hi_u32 s9, s14, s24
	s_cselect_b64 s[28:29], -1, 0
	s_add_i32 s35, s9, s8
	s_mul_i32 s34, s14, s24
	s_add_u32 s8, s12, s34
	s_addc_u32 s9, s13, s35
	s_add_u32 s8, s8, s22
	v_and_b32_e32 v2, 63, v0
	s_addc_u32 s9, s9, s23
	s_lshl_b64 s[24:25], s[24:25], 8
	s_lshl_b64 s[12:13], s[12:13], 2
	;; [unrolled: 1-line block ×3, first 2 shown]
	v_cmp_eq_u32_e64 s[4:5], 0, v2
	v_mov_b32_e32 v3, s17
	v_add_co_u32_e32 v2, vcc, s16, v13
	s_add_u32 s33, s12, s34
	v_addc_co_u32_e32 v3, vcc, v12, v3, vcc
	s_addc_u32 s34, s13, s35
	s_lshl_b64 s[12:13], s[22:23], 2
	v_mov_b32_e32 v5, s9
	v_add_co_u32_e32 v4, vcc, s8, v0
	s_add_u32 s12, s33, s12
	v_addc_co_u32_e32 v5, vcc, 0, v5, vcc
	v_lshrrev_b64 v[6:7], 9, v[2:3]
	s_addc_u32 s13, s34, s13
	v_add_co_u32_e32 v6, vcc, 1, v6
	s_add_u32 s33, s20, s12
	v_lshlrev_b64 v[4:5], 2, v[4:5]
	v_addc_co_u32_e32 v7, vcc, 0, v7, vcc
	v_lshlrev_b32_e32 v16, 2, v0
	s_addc_u32 s42, s21, s13
	v_add_co_u32_e32 v8, vcc, s20, v4
	v_mov_b32_e32 v4, s42
	v_add_co_u32_e64 v18, s[12:13], s33, v16
	v_mov_b32_e32 v9, s21
	s_mov_b64 s[8:9], 0x4200
	s_mov_b32 s10, -1
	v_addc_co_u32_e64 v19, s[12:13], 0, v4, s[12:13]
	v_addc_co_u32_e32 v9, vcc, v9, v5, vcc
	v_cmp_gt_u64_e64 s[30:31], s[8:9], v[2:3]
	s_mov_b64 s[8:9], 0x41ff
	s_brev_b32 s11, -4
	v_and_b32_e32 v12, -2, v6
	v_mov_b32_e32 v13, v7
	s_movk_i32 s12, 0x800
	v_cmp_lt_u64_e64 s[8:9], s[8:9], v[2:3]
	v_lshlrev_b64 v[10:11], 2, v[2:3]
	v_cmp_lt_u64_e32 vcc, s[10:11], v[2:3]
	v_lshlrev_b64 v[2:3], 9, v[12:13]
	v_add_co_u32_e64 v20, s[12:13], s12, v18
	v_mbcnt_lo_u32_b32 v4, -1, 0
	v_cmp_gt_i32_e64 s[2:3], s16, v0
	v_lshrrev_b32_e32 v28, 4, v0
	v_cmp_eq_u32_e64 s[6:7], 0, v0
	v_and_b32_e32 v10, 0xfffff800, v10
	v_or_b32_e32 v15, 0, v3
	v_or_b32_e32 v14, v2, v0
	;; [unrolled: 1-line block ×3, first 2 shown]
	v_mov_b32_e32 v3, v1
	v_cmp_ne_u64_e64 s[10:11], v[6:7], v[12:13]
	v_lshlrev_b32_e32 v29, 2, v0
	v_mov_b32_e32 v17, 0
	v_addc_co_u32_e64 v21, s[12:13], 0, v19, s[12:13]
	s_mov_b64 s[20:21], 0
	v_mov_b32_e32 v30, 0x2004
	v_mov_b32_e32 v31, 0x200c
	;; [unrolled: 1-line block ×3, first 2 shown]
	v_mbcnt_hi_u32_b32 v33, -1, v4
	s_xor_b64 s[22:23], vcc, -1
	s_movk_i32 s43, 0x400
	s_branch .LBB23_13
.LBB23_12:                              ;   in Loop: Header=BB23_13 Depth=1
	s_or_b64 exec, exec, s[34:35]
	s_add_u32 s14, s14, 64
	v_mov_b32_e32 v4, s25
	v_add_co_u32_e32 v18, vcc, s24, v18
	s_addc_u32 s15, s15, 0
	v_addc_co_u32_e32 v19, vcc, v19, v4, vcc
	s_add_u32 s20, s20, 1
	v_add_co_u32_e32 v20, vcc, s24, v20
	s_addc_u32 s21, s21, 0
	v_addc_co_u32_e32 v21, vcc, v21, v4, vcc
	v_pk_mov_b32 v[4:5], s[18:19], s[18:19] op_sel:[0,1]
	s_add_u32 s33, s33, s24
	v_cmp_ge_i64_e32 vcc, s[14:15], v[4:5]
	s_addc_u32 s42, s42, s25
	s_cbranch_vccnz .LBB23_39
.LBB23_13:                              ; =>This Loop Header: Depth=1
                                        ;     Child Loop BB23_15 Depth 2
                                        ;     Child Loop BB23_31 Depth 2
	;; [unrolled: 1-line block ×3, first 2 shown]
	v_mov_b32_e32 v6, 0
	s_and_saveexec_b64 s[12:13], s[2:3]
	s_cbranch_execz .LBB23_17
; %bb.14:                               ;   in Loop: Header=BB23_13 Depth=1
	s_mov_b64 s[34:35], 0
	v_mov_b32_e32 v6, 0
	v_pk_mov_b32 v[4:5], v[18:19], v[18:19] op_sel:[0,1]
	v_mov_b32_e32 v7, v29
	v_mov_b32_e32 v22, v0
.LBB23_15:                              ;   Parent Loop BB23_13 Depth=1
                                        ; =>  This Inner Loop Header: Depth=2
	global_load_dword v23, v[4:5], off
	ds_read_b32 v24, v7
	v_add_co_u32_e32 v4, vcc, 0x800, v4
	v_add_u32_e32 v22, 0x200, v22
	v_addc_co_u32_e32 v5, vcc, 0, v5, vcc
	v_cmp_le_i32_e32 vcc, s16, v22
	v_add_u32_e32 v7, 0x800, v7
	s_or_b64 s[34:35], vcc, s[34:35]
	s_waitcnt vmcnt(0) lgkmcnt(0)
	v_mul_f32_e32 v23, v24, v23
	v_add_f32_e32 v6, v6, v23
	s_andn2_b64 exec, exec, s[34:35]
	s_cbranch_execnz .LBB23_15
; %bb.16:                               ;   in Loop: Header=BB23_13 Depth=1
	s_or_b64 exec, exec, s[34:35]
.LBB23_17:                              ;   in Loop: Header=BB23_13 Depth=1
	s_or_b64 exec, exec, s[12:13]
	s_and_b64 vcc, exec, s[28:29]
	s_cbranch_vccz .LBB23_24
; %bb.18:                               ;   in Loop: Header=BB23_13 Depth=1
	v_and_b32_e32 v4, 63, v33
	v_cmp_ne_u32_e32 vcc, 63, v4
	v_addc_co_u32_e32 v5, vcc, 0, v33, vcc
	v_lshlrev_b32_e32 v5, 2, v5
	ds_bpermute_b32 v5, v5, v6
	v_cmp_gt_u32_e32 vcc, 62, v4
	v_cndmask_b32_e64 v7, 0, 1, vcc
	v_lshlrev_b32_e32 v7, 1, v7
	v_add_lshl_u32 v7, v7, v33, 2
	s_waitcnt lgkmcnt(0)
	v_add_f32_e32 v5, v6, v5
	ds_bpermute_b32 v7, v7, v5
	v_cmp_gt_u32_e32 vcc, 60, v4
	v_cndmask_b32_e64 v22, 0, 1, vcc
	v_cmp_gt_u32_e32 vcc, 56, v4
	s_waitcnt lgkmcnt(0)
	v_add_f32_e32 v5, v5, v7
	v_lshlrev_b32_e32 v7, 2, v22
	v_add_lshl_u32 v7, v7, v33, 2
	ds_bpermute_b32 v7, v7, v5
	v_cndmask_b32_e64 v22, 0, 1, vcc
	v_cmp_gt_u32_e32 vcc, 48, v4
	s_waitcnt lgkmcnt(0)
	v_add_f32_e32 v5, v5, v7
	v_lshlrev_b32_e32 v7, 3, v22
	v_add_lshl_u32 v7, v7, v33, 2
	ds_bpermute_b32 v7, v7, v5
	v_cndmask_b32_e64 v22, 0, 1, vcc
	v_cmp_gt_u32_e32 vcc, 32, v4
	v_cndmask_b32_e64 v4, 0, 1, vcc
	v_lshlrev_b32_e32 v4, 5, v4
	s_waitcnt lgkmcnt(0)
	v_add_f32_e32 v5, v5, v7
	v_lshlrev_b32_e32 v7, 4, v22
	v_add_lshl_u32 v7, v7, v33, 2
	ds_bpermute_b32 v7, v7, v5
	v_add_lshl_u32 v4, v4, v33, 2
	s_waitcnt lgkmcnt(0)
	v_add_f32_e32 v5, v5, v7
	ds_bpermute_b32 v4, v4, v5
	s_waitcnt lgkmcnt(0)
	v_add_f32_e32 v4, v5, v4
	s_and_saveexec_b64 s[12:13], s[4:5]
	s_cbranch_execz .LBB23_20
; %bb.19:                               ;   in Loop: Header=BB23_13 Depth=1
	ds_write_b32 v28, v4 offset:8192
.LBB23_20:                              ;   in Loop: Header=BB23_13 Depth=1
	s_or_b64 exec, exec, s[12:13]
	s_mov_b64 s[34:35], 0
	s_mov_b64 s[12:13], 0
	s_waitcnt lgkmcnt(0)
	s_barrier
	s_waitcnt lgkmcnt(0)
                                        ; implicit-def: $vgpr5
	s_and_saveexec_b64 s[36:37], s[6:7]
	s_xor_b64 s[36:37], exec, s[36:37]
	s_cbranch_execz .LBB23_22
; %bb.21:                               ;   in Loop: Header=BB23_13 Depth=1
	ds_read2_b32 v[22:23], v30 offset1:1
	ds_read2_b32 v[24:25], v31 offset1:1
	;; [unrolled: 1-line block ×3, first 2 shown]
	ds_read_b32 v5, v17 offset:8220
	s_mov_b64 s[12:13], exec
	s_waitcnt lgkmcnt(3)
	v_add_f32_e32 v4, v4, v22
	v_add_f32_e32 v4, v4, v23
	s_waitcnt lgkmcnt(2)
	v_add_f32_e32 v4, v4, v24
	v_add_f32_e32 v4, v4, v25
	;; [unrolled: 3-line block ×3, first 2 shown]
	s_waitcnt lgkmcnt(0)
	v_add_f32_e32 v5, v4, v5
.LBB23_22:                              ;   in Loop: Header=BB23_13 Depth=1
	s_or_b64 exec, exec, s[36:37]
	s_and_b64 vcc, exec, s[34:35]
	s_cbranch_vccnz .LBB23_25
.LBB23_23:                              ;   in Loop: Header=BB23_13 Depth=1
	v_mov_b32_e32 v6, v5
	s_and_saveexec_b64 s[34:35], s[12:13]
	s_cbranch_execnz .LBB23_26
	s_branch .LBB23_27
.LBB23_24:                              ;   in Loop: Header=BB23_13 Depth=1
	s_mov_b64 s[12:13], 0
                                        ; implicit-def: $vgpr5
	s_cbranch_execz .LBB23_23
.LBB23_25:                              ;   in Loop: Header=BB23_13 Depth=1
	s_andn2_b64 s[12:13], s[12:13], exec
	s_and_b64 s[34:35], s[6:7], exec
	s_or_b64 s[12:13], s[12:13], s[34:35]
	s_and_saveexec_b64 s[34:35], s[12:13]
	s_cbranch_execz .LBB23_27
.LBB23_26:                              ;   in Loop: Header=BB23_13 Depth=1
	ds_write_b32 v17, v6 offset:8192
.LBB23_27:                              ;   in Loop: Header=BB23_13 Depth=1
	s_or_b64 exec, exec, s[34:35]
	s_waitcnt lgkmcnt(0)
	s_barrier
	s_and_saveexec_b64 s[34:35], s[0:1]
	s_cbranch_execz .LBB23_12
; %bb.28:                               ;   in Loop: Header=BB23_13 Depth=1
	global_load_dword v6, v17, s[26:27]
	ds_read_b32 v7, v17 offset:8192
	s_mov_b64 s[12:13], s[30:31]
	v_pk_mov_b32 v[4:5], v[0:1], v[0:1] op_sel:[0,1]
	s_waitcnt vmcnt(0) lgkmcnt(0)
	v_mul_f32_e64 v22, v7, -v6
	v_pk_mov_b32 v[6:7], v[16:17], v[16:17] op_sel:[0,1]
	s_and_saveexec_b64 s[36:37], s[8:9]
	s_cbranch_execz .LBB23_36
; %bb.29:                               ;   in Loop: Header=BB23_13 Depth=1
	s_mul_i32 s12, s25, s20
	s_mul_i32 s13, s24, s21
	v_mov_b32_e32 v4, s20
	s_add_i32 s38, s13, s12
	v_mad_u64_u32 v[4:5], s[12:13], s24, v4, v[8:9]
	v_add_u32_e32 v5, s38, v5
	v_add_co_u32_e32 v6, vcc, v4, v10
	v_addc_co_u32_e32 v7, vcc, v5, v11, vcc
	v_cmp_ge_u64_e32 vcc, v[6:7], v[4:5]
	s_mov_b64 s[12:13], -1
	s_and_b64 s[40:41], vcc, s[22:23]
	v_pk_mov_b32 v[4:5], v[0:1], v[0:1] op_sel:[0,1]
	v_pk_mov_b32 v[6:7], v[16:17], v[16:17] op_sel:[0,1]
	s_and_saveexec_b64 s[38:39], s[40:41]
	s_cbranch_execz .LBB23_35
; %bb.30:                               ;   in Loop: Header=BB23_13 Depth=1
	v_pk_mov_b32 v[6:7], v[2:3], v[2:3] op_sel:[0,1]
	v_mov_b32_e32 v23, v22
	s_mov_b64 s[40:41], 0
	v_pk_mov_b32 v[24:25], v[12:13], v[12:13] op_sel:[0,1]
	v_pk_mov_b32 v[26:27], v[20:21], v[20:21] op_sel:[0,1]
	;; [unrolled: 1-line block ×3, first 2 shown]
.LBB23_31:                              ;   Parent Loop BB23_13 Depth=1
                                        ; =>  This Inner Loop Header: Depth=2
	global_load_dword v34, v[26:27], off offset:-2048
	global_load_dword v35, v[26:27], off
	v_lshlrev_b32_e32 v36, 2, v4
	v_lshlrev_b32_e32 v37, 2, v6
	ds_read_b32 v36, v36
	ds_read_b32 v37, v37
	v_add_co_u32_e32 v6, vcc, s43, v6
	v_addc_co_u32_e32 v7, vcc, 0, v7, vcc
	v_add_co_u32_e64 v24, s[12:13], -2, v24
	v_add_co_u32_e32 v4, vcc, s43, v4
	v_addc_co_u32_e64 v25, s[12:13], -1, v25, s[12:13]
	v_addc_co_u32_e32 v5, vcc, 0, v5, vcc
	v_cmp_eq_u64_e64 s[12:13], 0, v[24:25]
	s_or_b64 s[40:41], s[12:13], s[40:41]
	s_waitcnt vmcnt(0) lgkmcnt(0)
	v_pk_fma_f32 v[34:35], v[22:23], v[36:37], v[34:35]
	global_store_dword v[26:27], v34, off offset:-2048
	global_store_dword v[26:27], v35, off
	v_add_co_u32_e32 v26, vcc, 0x1000, v26
	v_addc_co_u32_e32 v27, vcc, 0, v27, vcc
	s_andn2_b64 exec, exec, s[40:41]
	s_cbranch_execnz .LBB23_31
; %bb.32:                               ;   in Loop: Header=BB23_13 Depth=1
	s_or_b64 exec, exec, s[40:41]
	s_mov_b64 s[12:13], 0
                                        ; implicit-def: $vgpr6_vgpr7
	s_and_saveexec_b64 s[40:41], s[10:11]
	s_xor_b64 s[40:41], exec, s[40:41]
; %bb.33:                               ;   in Loop: Header=BB23_13 Depth=1
	s_mov_b64 s[12:13], exec
	v_lshlrev_b64 v[6:7], 2, v[14:15]
; %bb.34:                               ;   in Loop: Header=BB23_13 Depth=1
	s_or_b64 exec, exec, s[40:41]
	s_orn2_b64 s[12:13], s[12:13], exec
	v_pk_mov_b32 v[4:5], v[14:15], v[14:15] op_sel:[0,1]
.LBB23_35:                              ;   in Loop: Header=BB23_13 Depth=1
	s_or_b64 exec, exec, s[38:39]
	s_andn2_b64 s[38:39], s[30:31], exec
	s_and_b64 s[12:13], s[12:13], exec
	s_or_b64 s[12:13], s[38:39], s[12:13]
.LBB23_36:                              ;   in Loop: Header=BB23_13 Depth=1
	s_or_b64 exec, exec, s[36:37]
	s_and_b64 exec, exec, s[12:13]
	s_cbranch_execz .LBB23_12
; %bb.37:                               ;   in Loop: Header=BB23_13 Depth=1
	v_mov_b32_e32 v24, s42
	v_add_co_u32_e32 v6, vcc, s33, v6
	v_lshlrev_b32_e32 v23, 2, v4
	v_addc_co_u32_e32 v7, vcc, v24, v7, vcc
	s_mov_b64 s[12:13], 0
.LBB23_38:                              ;   Parent Loop BB23_13 Depth=1
                                        ; =>  This Inner Loop Header: Depth=2
	global_load_dword v24, v[6:7], off
	ds_read_b32 v25, v23
	v_add_co_u32_e32 v4, vcc, 0x200, v4
	v_addc_co_u32_e32 v5, vcc, 0, v5, vcc
	v_cmp_le_i64_e32 vcc, s[16:17], v[4:5]
	s_or_b64 s[12:13], vcc, s[12:13]
	v_add_u32_e32 v23, 0x800, v23
	s_waitcnt vmcnt(0) lgkmcnt(0)
	v_fmac_f32_e32 v24, v22, v25
	global_store_dword v[6:7], v24, off
	v_add_co_u32_e32 v6, vcc, 0x800, v6
	v_addc_co_u32_e32 v7, vcc, 0, v7, vcc
	s_andn2_b64 exec, exec, s[12:13]
	s_cbranch_execnz .LBB23_38
	s_branch .LBB23_12
.LBB23_39:
	s_endpgm
	.section	.rodata,"a",@progbits
	.p2align	6, 0x0
	.amdhsa_kernel _ZN9rocsolver6v33100L22larf_left_kernel_smallILi512EflPfEEvT1_S3_T2_lS3_lPKT0_lS4_lS3_l
		.amdhsa_group_segment_fixed_size 10240
		.amdhsa_private_segment_fixed_size 0
		.amdhsa_kernarg_size 96
		.amdhsa_user_sgpr_count 6
		.amdhsa_user_sgpr_private_segment_buffer 1
		.amdhsa_user_sgpr_dispatch_ptr 0
		.amdhsa_user_sgpr_queue_ptr 0
		.amdhsa_user_sgpr_kernarg_segment_ptr 1
		.amdhsa_user_sgpr_dispatch_id 0
		.amdhsa_user_sgpr_flat_scratch_init 0
		.amdhsa_user_sgpr_kernarg_preload_length 0
		.amdhsa_user_sgpr_kernarg_preload_offset 0
		.amdhsa_user_sgpr_private_segment_size 0
		.amdhsa_uses_dynamic_stack 0
		.amdhsa_system_sgpr_private_segment_wavefront_offset 0
		.amdhsa_system_sgpr_workgroup_id_x 1
		.amdhsa_system_sgpr_workgroup_id_y 1
		.amdhsa_system_sgpr_workgroup_id_z 0
		.amdhsa_system_sgpr_workgroup_info 0
		.amdhsa_system_vgpr_workitem_id 0
		.amdhsa_next_free_vgpr 38
		.amdhsa_next_free_sgpr 44
		.amdhsa_accum_offset 40
		.amdhsa_reserve_vcc 1
		.amdhsa_reserve_flat_scratch 0
		.amdhsa_float_round_mode_32 0
		.amdhsa_float_round_mode_16_64 0
		.amdhsa_float_denorm_mode_32 3
		.amdhsa_float_denorm_mode_16_64 3
		.amdhsa_dx10_clamp 1
		.amdhsa_ieee_mode 1
		.amdhsa_fp16_overflow 0
		.amdhsa_tg_split 0
		.amdhsa_exception_fp_ieee_invalid_op 0
		.amdhsa_exception_fp_denorm_src 0
		.amdhsa_exception_fp_ieee_div_zero 0
		.amdhsa_exception_fp_ieee_overflow 0
		.amdhsa_exception_fp_ieee_underflow 0
		.amdhsa_exception_fp_ieee_inexact 0
		.amdhsa_exception_int_div_zero 0
	.end_amdhsa_kernel
	.section	.text._ZN9rocsolver6v33100L22larf_left_kernel_smallILi512EflPfEEvT1_S3_T2_lS3_lPKT0_lS4_lS3_l,"axG",@progbits,_ZN9rocsolver6v33100L22larf_left_kernel_smallILi512EflPfEEvT1_S3_T2_lS3_lPKT0_lS4_lS3_l,comdat
.Lfunc_end23:
	.size	_ZN9rocsolver6v33100L22larf_left_kernel_smallILi512EflPfEEvT1_S3_T2_lS3_lPKT0_lS4_lS3_l, .Lfunc_end23-_ZN9rocsolver6v33100L22larf_left_kernel_smallILi512EflPfEEvT1_S3_T2_lS3_lPKT0_lS4_lS3_l
                                        ; -- End function
	.section	.AMDGPU.csdata,"",@progbits
; Kernel info:
; codeLenInByte = 2276
; NumSgprs: 48
; NumVgprs: 38
; NumAgprs: 0
; TotalNumVgprs: 38
; ScratchSize: 0
; MemoryBound: 0
; FloatMode: 240
; IeeeMode: 1
; LDSByteSize: 10240 bytes/workgroup (compile time only)
; SGPRBlocks: 5
; VGPRBlocks: 4
; NumSGPRsForWavesPerEU: 48
; NumVGPRsForWavesPerEU: 38
; AccumOffset: 40
; Occupancy: 8
; WaveLimiterHint : 1
; COMPUTE_PGM_RSRC2:SCRATCH_EN: 0
; COMPUTE_PGM_RSRC2:USER_SGPR: 6
; COMPUTE_PGM_RSRC2:TRAP_HANDLER: 0
; COMPUTE_PGM_RSRC2:TGID_X_EN: 1
; COMPUTE_PGM_RSRC2:TGID_Y_EN: 1
; COMPUTE_PGM_RSRC2:TGID_Z_EN: 0
; COMPUTE_PGM_RSRC2:TIDIG_COMP_CNT: 0
; COMPUTE_PGM_RSRC3_GFX90A:ACCUM_OFFSET: 9
; COMPUTE_PGM_RSRC3_GFX90A:TG_SPLIT: 0
	.section	.text._ZN9rocsolver6v33100L22larf_left_kernel_smallILi1024EflPfEEvT1_S3_T2_lS3_lPKT0_lS4_lS3_l,"axG",@progbits,_ZN9rocsolver6v33100L22larf_left_kernel_smallILi1024EflPfEEvT1_S3_T2_lS3_lPKT0_lS4_lS3_l,comdat
	.globl	_ZN9rocsolver6v33100L22larf_left_kernel_smallILi1024EflPfEEvT1_S3_T2_lS3_lPKT0_lS4_lS3_l ; -- Begin function _ZN9rocsolver6v33100L22larf_left_kernel_smallILi1024EflPfEEvT1_S3_T2_lS3_lPKT0_lS4_lS3_l
	.p2align	8
	.type	_ZN9rocsolver6v33100L22larf_left_kernel_smallILi1024EflPfEEvT1_S3_T2_lS3_lPKT0_lS4_lS3_l,@function
_ZN9rocsolver6v33100L22larf_left_kernel_smallILi1024EflPfEEvT1_S3_T2_lS3_lPKT0_lS4_lS3_l: ; @_ZN9rocsolver6v33100L22larf_left_kernel_smallILi1024EflPfEEvT1_S3_T2_lS3_lPKT0_lS4_lS3_l
; %bb.0:
	s_load_dwordx16 s[16:31], s[4:5], 0x0
	s_mov_b32 s14, s7
	s_mov_b64 s[10:11], 0
	s_waitcnt lgkmcnt(0)
	v_cmp_gt_i64_e64 s[0:1], s[24:25], 0
	s_and_b64 vcc, exec, s[0:1]
	s_cbranch_vccnz .LBB24_2
; %bb.1:
	s_sub_u32 s0, 1, s16
	s_subb_u32 s1, 0, s17
	s_mul_i32 s2, s0, s25
	s_mul_hi_u32 s3, s0, s24
	s_add_i32 s2, s3, s2
	s_mul_i32 s1, s1, s24
	s_add_i32 s11, s2, s1
	s_mul_i32 s10, s0, s24
.LBB24_2:
	v_mov_b32_e32 v1, 0
	s_mov_b32 s15, 0
	v_cmp_gt_i64_e64 s[0:1], s[16:17], v[0:1]
	v_not_b32_e32 v12, 0
	v_not_b32_e32 v13, v0
	s_and_saveexec_b64 s[8:9], s[0:1]
	s_cbranch_execz .LBB24_10
; %bb.3:
	s_mul_i32 s2, s6, s27
	s_mul_hi_u32 s3, s6, s26
	v_mov_b32_e32 v2, s17
	v_add_co_u32_e32 v4, vcc, s16, v13
	s_add_i32 s13, s3, s2
	v_addc_co_u32_e32 v5, vcc, v12, v2, vcc
	s_mov_b64 s[2:3], 0x3ff
	s_mul_i32 s12, s6, s26
	v_cmp_lt_u64_e32 vcc, s[2:3], v[4:5]
	s_mov_b64 s[2:3], -1
	v_pk_mov_b32 v[2:3], v[0:1], v[0:1] op_sel:[0,1]
	s_and_saveexec_b64 s[26:27], vcc
	s_cbranch_execz .LBB24_7
; %bb.4:
	s_lshl_b64 s[2:3], s[12:13], 2
	s_add_u32 s7, s20, s2
	s_addc_u32 s33, s21, s3
	s_lshl_b64 s[2:3], s[22:23], 2
	s_add_u32 s7, s7, s2
	v_lshrrev_b64 v[2:3], 10, v[4:5]
	s_addc_u32 s33, s33, s3
	s_lshl_b64 s[2:3], s[10:11], 2
	v_add_co_u32_e32 v6, vcc, 1, v2
	s_add_u32 s7, s7, s2
	v_addc_co_u32_e32 v7, vcc, 0, v3, vcc
	v_or_b32_e32 v2, 0x400, v0
	v_mov_b32_e32 v3, v1
	s_addc_u32 s2, s33, s3
	v_and_b32_e32 v8, -2, v6
	v_mov_b32_e32 v9, v7
	v_pk_mov_b32 v[4:5], v[2:3], v[2:3] op_sel:[0,1]
	s_mov_b32 s33, s24
	s_mov_b32 s36, s25
	s_mov_b64 s[34:35], 0
	v_mov_b32_e32 v14, s2
	s_movk_i32 s37, 0x800
	v_pk_mov_b32 v[10:11], v[8:9], v[8:9] op_sel:[0,1]
	v_pk_mov_b32 v[2:3], v[0:1], v[0:1] op_sel:[0,1]
.LBB24_5:                               ; =>This Inner Loop Header: Depth=1
	v_mul_lo_u32 v21, v3, s24
	v_mul_lo_u32 v22, v2, s25
	v_mad_u64_u32 v[18:19], s[2:3], v2, s24, 0
	v_add3_u32 v19, v19, v22, v21
	v_mul_lo_u32 v15, v5, s33
	v_mul_lo_u32 v20, v4, s36
	v_mad_u64_u32 v[16:17], s[2:3], v4, s33, 0
	v_lshlrev_b64 v[18:19], 2, v[18:19]
	v_add3_u32 v17, v17, v20, v15
	v_add_co_u32_e32 v18, vcc, s7, v18
	v_lshlrev_b64 v[16:17], 2, v[16:17]
	v_addc_co_u32_e32 v19, vcc, v14, v19, vcc
	v_add_co_u32_e32 v16, vcc, s7, v16
	v_addc_co_u32_e32 v17, vcc, v14, v17, vcc
	global_load_dword v15, v[18:19], off
	global_load_dword v20, v[16:17], off
	v_lshlrev_b32_e32 v17, 2, v4
	v_add_co_u32_e32 v4, vcc, s37, v4
	v_add_co_u32_e64 v10, s[2:3], -2, v10
	v_addc_co_u32_e64 v11, s[2:3], -1, v11, s[2:3]
	v_addc_co_u32_e32 v5, vcc, 0, v5, vcc
	v_lshlrev_b32_e32 v16, 2, v2
	v_add_co_u32_e32 v2, vcc, 0x800, v2
	v_cmp_eq_u64_e64 s[2:3], 0, v[10:11]
	v_addc_co_u32_e32 v3, vcc, 0, v3, vcc
	s_or_b64 s[34:35], s[2:3], s[34:35]
	s_waitcnt vmcnt(1)
	ds_write_b32 v16, v15
	s_waitcnt vmcnt(0)
	ds_write_b32 v17, v20
	s_andn2_b64 exec, exec, s[34:35]
	s_cbranch_execnz .LBB24_5
; %bb.6:
	s_or_b64 exec, exec, s[34:35]
	v_lshlrev_b64 v[2:3], 10, v[8:9]
	v_cmp_ne_u64_e32 vcc, v[6:7], v[8:9]
	v_or_b32_e32 v3, 0, v3
	v_or_b32_e32 v2, v2, v0
	s_orn2_b64 s[2:3], vcc, exec
.LBB24_7:
	s_or_b64 exec, exec, s[26:27]
	s_and_b64 exec, exec, s[2:3]
	s_cbranch_execz .LBB24_10
; %bb.8:
	v_mad_u64_u32 v[4:5], s[2:3], v2, s24, 0
	s_lshl_b64 s[2:3], s[12:13], 2
	s_lshl_b64 s[10:11], s[10:11], 2
	s_lshl_b64 s[12:13], s[22:23], 2
	s_add_u32 s7, s20, s12
	s_addc_u32 s12, s21, s13
	s_add_u32 s7, s7, s10
	v_mul_lo_u32 v6, v3, s24
	v_mul_lo_u32 v7, v2, s25
	s_addc_u32 s10, s12, s11
	v_add3_u32 v5, v5, v7, v6
	s_add_u32 s2, s7, s2
	v_lshlrev_b64 v[4:5], 2, v[4:5]
	s_addc_u32 s3, s10, s3
	v_mov_b32_e32 v6, s3
	v_add_co_u32_e32 v4, vcc, s2, v4
	s_lshl_b64 s[10:11], s[24:25], 12
	v_addc_co_u32_e32 v5, vcc, v6, v5, vcc
	v_lshlrev_b32_e32 v6, 2, v2
	s_mov_b64 s[12:13], 0
	v_mov_b32_e32 v7, s11
.LBB24_9:                               ; =>This Inner Loop Header: Depth=1
	global_load_dword v8, v[4:5], off
	v_add_co_u32_e32 v2, vcc, 0x400, v2
	v_addc_co_u32_e32 v3, vcc, 0, v3, vcc
	v_add_co_u32_e64 v4, s[2:3], s10, v4
	v_cmp_le_i64_e32 vcc, s[16:17], v[2:3]
	v_addc_co_u32_e64 v5, s[2:3], v5, v7, s[2:3]
	s_or_b64 s[12:13], vcc, s[12:13]
	s_waitcnt vmcnt(0)
	ds_write_b32 v6, v8
	v_add_u32_e32 v6, 0x1000, v6
	s_andn2_b64 exec, exec, s[12:13]
	s_cbranch_execnz .LBB24_9
.LBB24_10:
	s_or_b64 exec, exec, s[8:9]
	v_pk_mov_b32 v[2:3], s[18:19], s[18:19] op_sel:[0,1]
	v_cmp_ge_i64_e32 vcc, s[14:15], v[2:3]
	s_waitcnt lgkmcnt(0)
	s_barrier
	s_cbranch_vccnz .LBB24_39
; %bb.11:
	s_load_dwordx8 s[20:27], s[4:5], 0x40
	s_mul_i32 s2, s6, s31
	s_mul_hi_u32 s3, s6, s30
	s_add_i32 s3, s3, s2
	s_mul_i32 s2, s6, s30
	s_waitcnt lgkmcnt(0)
	s_mul_i32 s4, s6, s27
	s_mul_hi_u32 s5, s6, s26
	s_add_i32 s13, s5, s4
	s_lshl_b64 s[2:3], s[2:3], 2
	s_mul_i32 s12, s6, s26
	s_add_u32 s26, s28, s2
	s_addc_u32 s27, s29, s3
	s_cmp_gt_i32 s16, 1
	s_mul_i32 s8, s14, s25
	s_mul_hi_u32 s9, s14, s24
	s_cselect_b64 s[28:29], -1, 0
	s_add_i32 s35, s9, s8
	s_mul_i32 s34, s14, s24
	s_add_u32 s8, s12, s34
	s_addc_u32 s9, s13, s35
	s_add_u32 s8, s8, s22
	v_and_b32_e32 v2, 63, v0
	s_addc_u32 s9, s9, s23
	s_lshl_b64 s[24:25], s[24:25], 8
	s_lshl_b64 s[12:13], s[12:13], 2
	;; [unrolled: 1-line block ×3, first 2 shown]
	v_cmp_eq_u32_e64 s[4:5], 0, v2
	v_mov_b32_e32 v3, s17
	v_add_co_u32_e32 v2, vcc, s16, v13
	s_add_u32 s33, s12, s34
	v_addc_co_u32_e32 v3, vcc, v12, v3, vcc
	s_addc_u32 s34, s13, s35
	s_lshl_b64 s[12:13], s[22:23], 2
	v_mov_b32_e32 v5, s9
	v_add_co_u32_e32 v4, vcc, s8, v0
	s_add_u32 s12, s33, s12
	v_addc_co_u32_e32 v5, vcc, 0, v5, vcc
	v_lshrrev_b64 v[6:7], 10, v[2:3]
	s_addc_u32 s13, s34, s13
	v_add_co_u32_e32 v6, vcc, 1, v6
	s_add_u32 s33, s20, s12
	v_lshlrev_b64 v[4:5], 2, v[4:5]
	v_addc_co_u32_e32 v7, vcc, 0, v7, vcc
	v_lshlrev_b32_e32 v16, 2, v0
	s_addc_u32 s42, s21, s13
	v_add_co_u32_e32 v8, vcc, s20, v4
	v_mov_b32_e32 v4, s42
	v_add_co_u32_e64 v18, s[12:13], s33, v16
	v_mov_b32_e32 v9, s21
	s_mov_b64 s[8:9], 0x8400
	s_mov_b32 s10, -1
	v_addc_co_u32_e64 v19, s[12:13], 0, v4, s[12:13]
	v_addc_co_u32_e32 v9, vcc, v9, v5, vcc
	v_cmp_gt_u64_e64 s[30:31], s[8:9], v[2:3]
	s_mov_b64 s[8:9], 0x83ff
	s_brev_b32 s11, -4
	v_and_b32_e32 v12, -2, v6
	v_mov_b32_e32 v13, v7
	s_movk_i32 s12, 0x1000
	v_cmp_lt_u64_e64 s[8:9], s[8:9], v[2:3]
	v_lshlrev_b64 v[10:11], 2, v[2:3]
	v_cmp_lt_u64_e32 vcc, s[10:11], v[2:3]
	v_lshlrev_b64 v[2:3], 10, v[12:13]
	v_add_co_u32_e64 v20, s[12:13], s12, v18
	v_mbcnt_lo_u32_b32 v4, -1, 0
	v_cmp_gt_i32_e64 s[2:3], s16, v0
	v_lshrrev_b32_e32 v28, 4, v0
	v_cmp_eq_u32_e64 s[6:7], 0, v0
	v_and_b32_e32 v10, 0xfffff000, v10
	v_or_b32_e32 v15, 0, v3
	v_or_b32_e32 v14, v2, v0
	;; [unrolled: 1-line block ×3, first 2 shown]
	v_mov_b32_e32 v3, v1
	v_cmp_ne_u64_e64 s[10:11], v[6:7], v[12:13]
	v_lshlrev_b32_e32 v29, 2, v0
	v_mov_b32_e32 v17, 0
	v_addc_co_u32_e64 v21, s[12:13], 0, v19, s[12:13]
	s_mov_b64 s[20:21], 0
	v_mov_b32_e32 v30, 0x2004
	v_mov_b32_e32 v31, 0x200c
	;; [unrolled: 1-line block ×7, first 2 shown]
	v_mbcnt_hi_u32_b32 v37, -1, v4
	s_xor_b64 s[22:23], vcc, -1
	s_movk_i32 s43, 0x800
	s_branch .LBB24_13
.LBB24_12:                              ;   in Loop: Header=BB24_13 Depth=1
	s_or_b64 exec, exec, s[34:35]
	s_add_u32 s14, s14, 64
	v_mov_b32_e32 v4, s25
	v_add_co_u32_e32 v18, vcc, s24, v18
	s_addc_u32 s15, s15, 0
	v_addc_co_u32_e32 v19, vcc, v19, v4, vcc
	s_add_u32 s20, s20, 1
	v_add_co_u32_e32 v20, vcc, s24, v20
	s_addc_u32 s21, s21, 0
	v_addc_co_u32_e32 v21, vcc, v21, v4, vcc
	v_pk_mov_b32 v[4:5], s[18:19], s[18:19] op_sel:[0,1]
	s_add_u32 s33, s33, s24
	v_cmp_ge_i64_e32 vcc, s[14:15], v[4:5]
	s_addc_u32 s42, s42, s25
	s_cbranch_vccnz .LBB24_39
.LBB24_13:                              ; =>This Loop Header: Depth=1
                                        ;     Child Loop BB24_15 Depth 2
                                        ;     Child Loop BB24_31 Depth 2
	;; [unrolled: 1-line block ×3, first 2 shown]
	v_mov_b32_e32 v6, 0
	s_and_saveexec_b64 s[12:13], s[2:3]
	s_cbranch_execz .LBB24_17
; %bb.14:                               ;   in Loop: Header=BB24_13 Depth=1
	s_mov_b64 s[34:35], 0
	v_mov_b32_e32 v6, 0
	v_pk_mov_b32 v[4:5], v[18:19], v[18:19] op_sel:[0,1]
	v_mov_b32_e32 v7, v29
	v_mov_b32_e32 v22, v0
.LBB24_15:                              ;   Parent Loop BB24_13 Depth=1
                                        ; =>  This Inner Loop Header: Depth=2
	global_load_dword v23, v[4:5], off
	ds_read_b32 v24, v7
	v_add_co_u32_e32 v4, vcc, 0x1000, v4
	v_add_u32_e32 v22, 0x400, v22
	v_addc_co_u32_e32 v5, vcc, 0, v5, vcc
	v_cmp_le_i32_e32 vcc, s16, v22
	v_add_u32_e32 v7, 0x1000, v7
	s_or_b64 s[34:35], vcc, s[34:35]
	s_waitcnt vmcnt(0) lgkmcnt(0)
	v_mul_f32_e32 v23, v24, v23
	v_add_f32_e32 v6, v6, v23
	s_andn2_b64 exec, exec, s[34:35]
	s_cbranch_execnz .LBB24_15
; %bb.16:                               ;   in Loop: Header=BB24_13 Depth=1
	s_or_b64 exec, exec, s[34:35]
.LBB24_17:                              ;   in Loop: Header=BB24_13 Depth=1
	s_or_b64 exec, exec, s[12:13]
	s_and_b64 vcc, exec, s[28:29]
	s_cbranch_vccz .LBB24_24
; %bb.18:                               ;   in Loop: Header=BB24_13 Depth=1
	v_and_b32_e32 v4, 63, v37
	v_cmp_ne_u32_e32 vcc, 63, v4
	v_addc_co_u32_e32 v5, vcc, 0, v37, vcc
	v_lshlrev_b32_e32 v5, 2, v5
	ds_bpermute_b32 v5, v5, v6
	v_cmp_gt_u32_e32 vcc, 62, v4
	v_cndmask_b32_e64 v7, 0, 1, vcc
	v_lshlrev_b32_e32 v7, 1, v7
	v_add_lshl_u32 v7, v7, v37, 2
	s_waitcnt lgkmcnt(0)
	v_add_f32_e32 v5, v6, v5
	ds_bpermute_b32 v7, v7, v5
	v_cmp_gt_u32_e32 vcc, 60, v4
	v_cndmask_b32_e64 v22, 0, 1, vcc
	v_cmp_gt_u32_e32 vcc, 56, v4
	s_waitcnt lgkmcnt(0)
	v_add_f32_e32 v5, v5, v7
	v_lshlrev_b32_e32 v7, 2, v22
	v_add_lshl_u32 v7, v7, v37, 2
	ds_bpermute_b32 v7, v7, v5
	v_cndmask_b32_e64 v22, 0, 1, vcc
	v_cmp_gt_u32_e32 vcc, 48, v4
	s_waitcnt lgkmcnt(0)
	v_add_f32_e32 v5, v5, v7
	v_lshlrev_b32_e32 v7, 3, v22
	v_add_lshl_u32 v7, v7, v37, 2
	ds_bpermute_b32 v7, v7, v5
	v_cndmask_b32_e64 v22, 0, 1, vcc
	v_cmp_gt_u32_e32 vcc, 32, v4
	v_cndmask_b32_e64 v4, 0, 1, vcc
	v_lshlrev_b32_e32 v4, 5, v4
	s_waitcnt lgkmcnt(0)
	v_add_f32_e32 v5, v5, v7
	v_lshlrev_b32_e32 v7, 4, v22
	v_add_lshl_u32 v7, v7, v37, 2
	ds_bpermute_b32 v7, v7, v5
	v_add_lshl_u32 v4, v4, v37, 2
	s_waitcnt lgkmcnt(0)
	v_add_f32_e32 v5, v5, v7
	ds_bpermute_b32 v4, v4, v5
	s_waitcnt lgkmcnt(0)
	v_add_f32_e32 v4, v5, v4
	s_and_saveexec_b64 s[12:13], s[4:5]
	s_cbranch_execz .LBB24_20
; %bb.19:                               ;   in Loop: Header=BB24_13 Depth=1
	ds_write_b32 v28, v4 offset:8192
.LBB24_20:                              ;   in Loop: Header=BB24_13 Depth=1
	s_or_b64 exec, exec, s[12:13]
	s_mov_b64 s[34:35], 0
	s_mov_b64 s[12:13], 0
	s_waitcnt lgkmcnt(0)
	s_barrier
	s_waitcnt lgkmcnt(0)
                                        ; implicit-def: $vgpr5
	s_and_saveexec_b64 s[36:37], s[6:7]
	s_xor_b64 s[36:37], exec, s[36:37]
	s_cbranch_execz .LBB24_22
; %bb.21:                               ;   in Loop: Header=BB24_13 Depth=1
	ds_read2_b32 v[22:23], v30 offset1:1
	ds_read2_b32 v[24:25], v31 offset1:1
	;; [unrolled: 1-line block ×4, first 2 shown]
	s_mov_b64 s[12:13], exec
	s_waitcnt lgkmcnt(3)
	v_add_f32_e32 v4, v4, v22
	v_add_f32_e32 v4, v4, v23
	s_waitcnt lgkmcnt(2)
	v_add_f32_e32 v4, v4, v24
	v_add_f32_e32 v4, v4, v25
	;; [unrolled: 3-line block ×3, first 2 shown]
	s_waitcnt lgkmcnt(0)
	v_add_f32_e32 v7, v4, v38
	ds_read2_b32 v[4:5], v34 offset1:1
	v_add_f32_e32 v7, v7, v39
	ds_read2_b32 v[22:23], v35 offset1:1
	ds_read2_b32 v[24:25], v36 offset1:1
	ds_read_b32 v26, v17 offset:8252
	s_waitcnt lgkmcnt(3)
	v_add_f32_e32 v4, v7, v4
	v_add_f32_e32 v4, v4, v5
	s_waitcnt lgkmcnt(2)
	v_add_f32_e32 v4, v4, v22
	v_add_f32_e32 v4, v4, v23
	;; [unrolled: 3-line block ×3, first 2 shown]
	s_waitcnt lgkmcnt(0)
	v_add_f32_e32 v5, v4, v26
.LBB24_22:                              ;   in Loop: Header=BB24_13 Depth=1
	s_or_b64 exec, exec, s[36:37]
	s_and_b64 vcc, exec, s[34:35]
	s_cbranch_vccnz .LBB24_25
.LBB24_23:                              ;   in Loop: Header=BB24_13 Depth=1
	v_mov_b32_e32 v6, v5
	s_and_saveexec_b64 s[34:35], s[12:13]
	s_cbranch_execnz .LBB24_26
	s_branch .LBB24_27
.LBB24_24:                              ;   in Loop: Header=BB24_13 Depth=1
	s_mov_b64 s[12:13], 0
                                        ; implicit-def: $vgpr5
	s_cbranch_execz .LBB24_23
.LBB24_25:                              ;   in Loop: Header=BB24_13 Depth=1
	s_andn2_b64 s[12:13], s[12:13], exec
	s_and_b64 s[34:35], s[6:7], exec
	s_or_b64 s[12:13], s[12:13], s[34:35]
	s_and_saveexec_b64 s[34:35], s[12:13]
	s_cbranch_execz .LBB24_27
.LBB24_26:                              ;   in Loop: Header=BB24_13 Depth=1
	ds_write_b32 v17, v6 offset:8192
.LBB24_27:                              ;   in Loop: Header=BB24_13 Depth=1
	s_or_b64 exec, exec, s[34:35]
	s_waitcnt lgkmcnt(0)
	s_barrier
	s_and_saveexec_b64 s[34:35], s[0:1]
	s_cbranch_execz .LBB24_12
; %bb.28:                               ;   in Loop: Header=BB24_13 Depth=1
	global_load_dword v6, v17, s[26:27]
	ds_read_b32 v7, v17 offset:8192
	s_mov_b64 s[12:13], s[30:31]
	v_pk_mov_b32 v[4:5], v[0:1], v[0:1] op_sel:[0,1]
	s_waitcnt vmcnt(0) lgkmcnt(0)
	v_mul_f32_e64 v22, v7, -v6
	v_pk_mov_b32 v[6:7], v[16:17], v[16:17] op_sel:[0,1]
	s_and_saveexec_b64 s[36:37], s[8:9]
	s_cbranch_execz .LBB24_36
; %bb.29:                               ;   in Loop: Header=BB24_13 Depth=1
	s_mul_i32 s12, s25, s20
	s_mul_i32 s13, s24, s21
	v_mov_b32_e32 v4, s20
	s_add_i32 s38, s13, s12
	v_mad_u64_u32 v[4:5], s[12:13], s24, v4, v[8:9]
	v_add_u32_e32 v5, s38, v5
	v_add_co_u32_e32 v6, vcc, v4, v10
	v_addc_co_u32_e32 v7, vcc, v5, v11, vcc
	v_cmp_ge_u64_e32 vcc, v[6:7], v[4:5]
	s_mov_b64 s[12:13], -1
	s_and_b64 s[40:41], vcc, s[22:23]
	v_pk_mov_b32 v[4:5], v[0:1], v[0:1] op_sel:[0,1]
	v_pk_mov_b32 v[6:7], v[16:17], v[16:17] op_sel:[0,1]
	s_and_saveexec_b64 s[38:39], s[40:41]
	s_cbranch_execz .LBB24_35
; %bb.30:                               ;   in Loop: Header=BB24_13 Depth=1
	v_pk_mov_b32 v[6:7], v[2:3], v[2:3] op_sel:[0,1]
	v_mov_b32_e32 v23, v22
	s_mov_b64 s[40:41], 0
	v_pk_mov_b32 v[24:25], v[12:13], v[12:13] op_sel:[0,1]
	v_pk_mov_b32 v[26:27], v[20:21], v[20:21] op_sel:[0,1]
	;; [unrolled: 1-line block ×3, first 2 shown]
.LBB24_31:                              ;   Parent Loop BB24_13 Depth=1
                                        ; =>  This Inner Loop Header: Depth=2
	global_load_dword v38, v[26:27], off offset:-4096
	global_load_dword v39, v[26:27], off
	v_lshlrev_b32_e32 v40, 2, v4
	v_lshlrev_b32_e32 v41, 2, v6
	ds_read_b32 v40, v40
	ds_read_b32 v41, v41
	v_add_co_u32_e32 v6, vcc, s43, v6
	v_addc_co_u32_e32 v7, vcc, 0, v7, vcc
	v_add_co_u32_e64 v24, s[12:13], -2, v24
	v_add_co_u32_e32 v4, vcc, s43, v4
	v_addc_co_u32_e64 v25, s[12:13], -1, v25, s[12:13]
	v_addc_co_u32_e32 v5, vcc, 0, v5, vcc
	v_cmp_eq_u64_e64 s[12:13], 0, v[24:25]
	s_or_b64 s[40:41], s[12:13], s[40:41]
	s_waitcnt vmcnt(0) lgkmcnt(0)
	v_pk_fma_f32 v[38:39], v[22:23], v[40:41], v[38:39]
	global_store_dword v[26:27], v38, off offset:-4096
	global_store_dword v[26:27], v39, off
	v_add_co_u32_e32 v26, vcc, 0x2000, v26
	v_addc_co_u32_e32 v27, vcc, 0, v27, vcc
	s_andn2_b64 exec, exec, s[40:41]
	s_cbranch_execnz .LBB24_31
; %bb.32:                               ;   in Loop: Header=BB24_13 Depth=1
	s_or_b64 exec, exec, s[40:41]
	s_mov_b64 s[12:13], 0
                                        ; implicit-def: $vgpr6_vgpr7
	s_and_saveexec_b64 s[40:41], s[10:11]
	s_xor_b64 s[40:41], exec, s[40:41]
; %bb.33:                               ;   in Loop: Header=BB24_13 Depth=1
	s_mov_b64 s[12:13], exec
	v_lshlrev_b64 v[6:7], 2, v[14:15]
; %bb.34:                               ;   in Loop: Header=BB24_13 Depth=1
	s_or_b64 exec, exec, s[40:41]
	s_orn2_b64 s[12:13], s[12:13], exec
	v_pk_mov_b32 v[4:5], v[14:15], v[14:15] op_sel:[0,1]
.LBB24_35:                              ;   in Loop: Header=BB24_13 Depth=1
	s_or_b64 exec, exec, s[38:39]
	s_andn2_b64 s[38:39], s[30:31], exec
	s_and_b64 s[12:13], s[12:13], exec
	s_or_b64 s[12:13], s[38:39], s[12:13]
.LBB24_36:                              ;   in Loop: Header=BB24_13 Depth=1
	s_or_b64 exec, exec, s[36:37]
	s_and_b64 exec, exec, s[12:13]
	s_cbranch_execz .LBB24_12
; %bb.37:                               ;   in Loop: Header=BB24_13 Depth=1
	v_mov_b32_e32 v24, s42
	v_add_co_u32_e32 v6, vcc, s33, v6
	v_lshlrev_b32_e32 v23, 2, v4
	v_addc_co_u32_e32 v7, vcc, v24, v7, vcc
	s_mov_b64 s[12:13], 0
.LBB24_38:                              ;   Parent Loop BB24_13 Depth=1
                                        ; =>  This Inner Loop Header: Depth=2
	global_load_dword v24, v[6:7], off
	ds_read_b32 v25, v23
	v_add_co_u32_e32 v4, vcc, 0x400, v4
	v_addc_co_u32_e32 v5, vcc, 0, v5, vcc
	v_cmp_le_i64_e32 vcc, s[16:17], v[4:5]
	s_or_b64 s[12:13], vcc, s[12:13]
	v_add_u32_e32 v23, 0x1000, v23
	s_waitcnt vmcnt(0) lgkmcnt(0)
	v_fmac_f32_e32 v24, v22, v25
	global_store_dword v[6:7], v24, off
	v_add_co_u32_e32 v6, vcc, 0x1000, v6
	v_addc_co_u32_e32 v7, vcc, 0, v7, vcc
	s_andn2_b64 exec, exec, s[12:13]
	s_cbranch_execnz .LBB24_38
	s_branch .LBB24_12
.LBB24_39:
	s_endpgm
	.section	.rodata,"a",@progbits
	.p2align	6, 0x0
	.amdhsa_kernel _ZN9rocsolver6v33100L22larf_left_kernel_smallILi1024EflPfEEvT1_S3_T2_lS3_lPKT0_lS4_lS3_l
		.amdhsa_group_segment_fixed_size 12288
		.amdhsa_private_segment_fixed_size 0
		.amdhsa_kernarg_size 96
		.amdhsa_user_sgpr_count 6
		.amdhsa_user_sgpr_private_segment_buffer 1
		.amdhsa_user_sgpr_dispatch_ptr 0
		.amdhsa_user_sgpr_queue_ptr 0
		.amdhsa_user_sgpr_kernarg_segment_ptr 1
		.amdhsa_user_sgpr_dispatch_id 0
		.amdhsa_user_sgpr_flat_scratch_init 0
		.amdhsa_user_sgpr_kernarg_preload_length 0
		.amdhsa_user_sgpr_kernarg_preload_offset 0
		.amdhsa_user_sgpr_private_segment_size 0
		.amdhsa_uses_dynamic_stack 0
		.amdhsa_system_sgpr_private_segment_wavefront_offset 0
		.amdhsa_system_sgpr_workgroup_id_x 1
		.amdhsa_system_sgpr_workgroup_id_y 1
		.amdhsa_system_sgpr_workgroup_id_z 0
		.amdhsa_system_sgpr_workgroup_info 0
		.amdhsa_system_vgpr_workitem_id 0
		.amdhsa_next_free_vgpr 42
		.amdhsa_next_free_sgpr 44
		.amdhsa_accum_offset 44
		.amdhsa_reserve_vcc 1
		.amdhsa_reserve_flat_scratch 0
		.amdhsa_float_round_mode_32 0
		.amdhsa_float_round_mode_16_64 0
		.amdhsa_float_denorm_mode_32 3
		.amdhsa_float_denorm_mode_16_64 3
		.amdhsa_dx10_clamp 1
		.amdhsa_ieee_mode 1
		.amdhsa_fp16_overflow 0
		.amdhsa_tg_split 0
		.amdhsa_exception_fp_ieee_invalid_op 0
		.amdhsa_exception_fp_denorm_src 0
		.amdhsa_exception_fp_ieee_div_zero 0
		.amdhsa_exception_fp_ieee_overflow 0
		.amdhsa_exception_fp_ieee_underflow 0
		.amdhsa_exception_fp_ieee_inexact 0
		.amdhsa_exception_int_div_zero 0
	.end_amdhsa_kernel
	.section	.text._ZN9rocsolver6v33100L22larf_left_kernel_smallILi1024EflPfEEvT1_S3_T2_lS3_lPKT0_lS4_lS3_l,"axG",@progbits,_ZN9rocsolver6v33100L22larf_left_kernel_smallILi1024EflPfEEvT1_S3_T2_lS3_lPKT0_lS4_lS3_l,comdat
.Lfunc_end24:
	.size	_ZN9rocsolver6v33100L22larf_left_kernel_smallILi1024EflPfEEvT1_S3_T2_lS3_lPKT0_lS4_lS3_l, .Lfunc_end24-_ZN9rocsolver6v33100L22larf_left_kernel_smallILi1024EflPfEEvT1_S3_T2_lS3_lPKT0_lS4_lS3_l
                                        ; -- End function
	.section	.AMDGPU.csdata,"",@progbits
; Kernel info:
; codeLenInByte = 2388
; NumSgprs: 48
; NumVgprs: 42
; NumAgprs: 0
; TotalNumVgprs: 42
; ScratchSize: 0
; MemoryBound: 0
; FloatMode: 240
; IeeeMode: 1
; LDSByteSize: 12288 bytes/workgroup (compile time only)
; SGPRBlocks: 5
; VGPRBlocks: 5
; NumSGPRsForWavesPerEU: 48
; NumVGPRsForWavesPerEU: 42
; AccumOffset: 44
; Occupancy: 8
; WaveLimiterHint : 1
; COMPUTE_PGM_RSRC2:SCRATCH_EN: 0
; COMPUTE_PGM_RSRC2:USER_SGPR: 6
; COMPUTE_PGM_RSRC2:TRAP_HANDLER: 0
; COMPUTE_PGM_RSRC2:TGID_X_EN: 1
; COMPUTE_PGM_RSRC2:TGID_Y_EN: 1
; COMPUTE_PGM_RSRC2:TGID_Z_EN: 0
; COMPUTE_PGM_RSRC2:TIDIG_COMP_CNT: 0
; COMPUTE_PGM_RSRC3_GFX90A:ACCUM_OFFSET: 10
; COMPUTE_PGM_RSRC3_GFX90A:TG_SPLIT: 0
	.section	.text._ZN9rocsolver6v33100L23larf_right_kernel_smallILi64EflPfEEvT1_S3_T2_lS3_lPKT0_lS4_lS3_l,"axG",@progbits,_ZN9rocsolver6v33100L23larf_right_kernel_smallILi64EflPfEEvT1_S3_T2_lS3_lPKT0_lS4_lS3_l,comdat
	.globl	_ZN9rocsolver6v33100L23larf_right_kernel_smallILi64EflPfEEvT1_S3_T2_lS3_lPKT0_lS4_lS3_l ; -- Begin function _ZN9rocsolver6v33100L23larf_right_kernel_smallILi64EflPfEEvT1_S3_T2_lS3_lPKT0_lS4_lS3_l
	.p2align	8
	.type	_ZN9rocsolver6v33100L23larf_right_kernel_smallILi64EflPfEEvT1_S3_T2_lS3_lPKT0_lS4_lS3_l,@function
_ZN9rocsolver6v33100L23larf_right_kernel_smallILi64EflPfEEvT1_S3_T2_lS3_lPKT0_lS4_lS3_l: ; @_ZN9rocsolver6v33100L23larf_right_kernel_smallILi64EflPfEEvT1_S3_T2_lS3_lPKT0_lS4_lS3_l
; %bb.0:
	s_load_dwordx16 s[8:23], s[4:5], 0x0
	s_mov_b32 s24, s7
	s_mov_b64 s[28:29], 0
	s_waitcnt lgkmcnt(0)
	v_cmp_gt_i64_e64 s[0:1], s[16:17], 0
	s_and_b64 vcc, exec, s[0:1]
	s_cbranch_vccnz .LBB25_2
; %bb.1:
	s_sub_u32 s0, 1, s10
	s_subb_u32 s1, 0, s11
	s_mul_i32 s2, s0, s17
	s_mul_hi_u32 s3, s0, s16
	s_add_i32 s2, s3, s2
	s_mul_i32 s1, s1, s16
	s_add_i32 s29, s2, s1
	s_mul_i32 s28, s0, s16
.LBB25_2:
	v_mov_b32_e32 v1, 0
	s_mov_b32 s25, 0
	v_cmp_gt_i64_e64 s[0:1], s[10:11], v[0:1]
	s_and_saveexec_b64 s[26:27], s[0:1]
	s_cbranch_execz .LBB25_10
; %bb.3:
	v_not_b32_e32 v3, v0
	v_not_b32_e32 v2, 0
	v_mov_b32_e32 v5, s11
	v_add_co_u32_e32 v4, vcc, s10, v3
	s_mul_i32 s2, s6, s19
	s_mul_hi_u32 s3, s6, s18
	v_addc_co_u32_e32 v5, vcc, v2, v5, vcc
	s_add_i32 s19, s3, s2
	s_mul_i32 s18, s6, s18
	v_cmp_lt_u64_e32 vcc, 63, v[4:5]
	s_mov_b64 s[2:3], -1
	v_pk_mov_b32 v[2:3], v[0:1], v[0:1] op_sel:[0,1]
	s_and_saveexec_b64 s[30:31], vcc
	s_cbranch_execz .LBB25_7
; %bb.4:
	s_lshl_b64 s[2:3], s[18:19], 2
	s_add_u32 s7, s12, s2
	s_addc_u32 s33, s13, s3
	s_lshl_b64 s[2:3], s[14:15], 2
	s_add_u32 s7, s7, s2
	v_lshrrev_b64 v[2:3], 6, v[4:5]
	s_addc_u32 s33, s33, s3
	s_lshl_b64 s[2:3], s[28:29], 2
	v_add_co_u32_e32 v6, vcc, 1, v2
	s_add_u32 s7, s7, s2
	v_addc_co_u32_e32 v7, vcc, 0, v3, vcc
	v_or_b32_e32 v2, 64, v0
	v_mov_b32_e32 v3, v1
	s_addc_u32 s2, s33, s3
	v_and_b32_e32 v8, -2, v6
	v_mov_b32_e32 v9, v7
	v_pk_mov_b32 v[4:5], v[2:3], v[2:3] op_sel:[0,1]
	s_mov_b32 s33, s16
	s_mov_b32 s36, s17
	s_mov_b64 s[34:35], 0
	v_mov_b32_e32 v12, s2
	s_movk_i32 s37, 0x80
	v_pk_mov_b32 v[10:11], v[8:9], v[8:9] op_sel:[0,1]
	v_pk_mov_b32 v[2:3], v[0:1], v[0:1] op_sel:[0,1]
.LBB25_5:                               ; =>This Inner Loop Header: Depth=1
	v_mul_lo_u32 v19, v3, s16
	v_mul_lo_u32 v20, v2, s17
	v_mad_u64_u32 v[16:17], s[2:3], v2, s16, 0
	v_add3_u32 v17, v17, v20, v19
	v_mul_lo_u32 v13, v5, s33
	v_mul_lo_u32 v18, v4, s36
	v_mad_u64_u32 v[14:15], s[2:3], v4, s33, 0
	v_lshlrev_b64 v[16:17], 2, v[16:17]
	v_add3_u32 v15, v15, v18, v13
	v_add_co_u32_e32 v16, vcc, s7, v16
	v_lshlrev_b64 v[14:15], 2, v[14:15]
	v_addc_co_u32_e32 v17, vcc, v12, v17, vcc
	v_add_co_u32_e32 v14, vcc, s7, v14
	v_addc_co_u32_e32 v15, vcc, v12, v15, vcc
	global_load_dword v13, v[16:17], off
	global_load_dword v18, v[14:15], off
	v_lshlrev_b32_e32 v15, 2, v4
	v_add_co_u32_e32 v4, vcc, s37, v4
	v_add_co_u32_e64 v10, s[2:3], -2, v10
	v_addc_co_u32_e64 v11, s[2:3], -1, v11, s[2:3]
	v_addc_co_u32_e32 v5, vcc, 0, v5, vcc
	v_lshlrev_b32_e32 v14, 2, v2
	v_add_co_u32_e32 v2, vcc, 0x80, v2
	v_cmp_eq_u64_e64 s[2:3], 0, v[10:11]
	v_addc_co_u32_e32 v3, vcc, 0, v3, vcc
	s_or_b64 s[34:35], s[2:3], s[34:35]
	s_waitcnt vmcnt(1)
	ds_write_b32 v14, v13
	s_waitcnt vmcnt(0)
	ds_write_b32 v15, v18
	s_andn2_b64 exec, exec, s[34:35]
	s_cbranch_execnz .LBB25_5
; %bb.6:
	s_or_b64 exec, exec, s[34:35]
	v_lshlrev_b64 v[2:3], 6, v[8:9]
	v_cmp_ne_u64_e32 vcc, v[6:7], v[8:9]
	v_or_b32_e32 v3, 0, v3
	v_or_b32_e32 v2, v2, v0
	s_orn2_b64 s[2:3], vcc, exec
.LBB25_7:
	s_or_b64 exec, exec, s[30:31]
	s_and_b64 exec, exec, s[2:3]
	s_cbranch_execz .LBB25_10
; %bb.8:
	v_mad_u64_u32 v[4:5], s[2:3], v2, s16, 0
	s_lshl_b64 s[2:3], s[18:19], 2
	s_lshl_b64 s[18:19], s[28:29], 2
	;; [unrolled: 1-line block ×3, first 2 shown]
	s_add_u32 s7, s12, s14
	s_addc_u32 s12, s13, s15
	s_add_u32 s7, s7, s18
	v_mul_lo_u32 v6, v3, s16
	v_mul_lo_u32 v7, v2, s17
	s_addc_u32 s12, s12, s19
	v_add3_u32 v5, v5, v7, v6
	s_add_u32 s2, s7, s2
	v_lshlrev_b64 v[4:5], 2, v[4:5]
	s_addc_u32 s3, s12, s3
	v_mov_b32_e32 v6, s3
	v_add_co_u32_e32 v4, vcc, s2, v4
	s_lshl_b64 s[2:3], s[16:17], 8
	v_addc_co_u32_e32 v5, vcc, v6, v5, vcc
	v_lshlrev_b32_e32 v6, 2, v2
	s_mov_b64 s[12:13], 0
	v_mov_b32_e32 v7, s3
.LBB25_9:                               ; =>This Inner Loop Header: Depth=1
	global_load_dword v8, v[4:5], off
	v_add_co_u32_e32 v2, vcc, 64, v2
	v_addc_co_u32_e32 v3, vcc, 0, v3, vcc
	v_add_co_u32_e32 v4, vcc, s2, v4
	v_addc_co_u32_e32 v5, vcc, v5, v7, vcc
	v_cmp_le_i64_e32 vcc, s[10:11], v[2:3]
	s_or_b64 s[12:13], vcc, s[12:13]
	s_waitcnt vmcnt(0)
	ds_write_b32 v6, v8
	v_add_u32_e32 v6, 0x100, v6
	s_andn2_b64 exec, exec, s[12:13]
	s_cbranch_execnz .LBB25_9
.LBB25_10:
	s_or_b64 exec, exec, s[26:27]
	v_pk_mov_b32 v[2:3], s[8:9], s[8:9] op_sel:[0,1]
	v_cmp_ge_i64_e32 vcc, s[24:25], v[2:3]
	s_waitcnt lgkmcnt(0)
	; wave barrier
	s_waitcnt lgkmcnt(0)
	s_cbranch_vccnz .LBB25_28
; %bb.11:
	s_load_dwordx8 s[12:19], s[4:5], 0x40
	s_mul_i32 s4, s6, s23
	v_mbcnt_lo_u32_b32 v6, -1, 0
	v_mbcnt_hi_u32_b32 v14, -1, v6
	v_lshrrev_b32_e32 v10, 4, v0
	s_waitcnt lgkmcnt(0)
	s_mul_i32 s3, s6, s19
	s_mul_hi_u32 s5, s6, s18
	s_mul_i32 s2, s6, s18
	s_add_i32 s3, s5, s3
	s_lshl_b64 s[26:27], s[2:3], 2
	s_add_u32 s2, s12, s26
	s_addc_u32 s3, s13, s27
	s_lshl_b64 s[28:29], s[14:15], 2
	s_add_u32 s18, s2, s28
	s_mul_hi_u32 s2, s6, s22
	s_addc_u32 s19, s3, s29
	s_add_i32 s3, s2, s4
	s_mul_i32 s2, s6, s22
	s_lshl_b64 s[2:3], s[2:3], 2
	s_add_u32 s4, s20, s2
	v_mad_u64_u32 v[2:3], s[22:23], s16, v0, 0
	s_addc_u32 s5, s21, s3
	v_mov_b32_e32 v4, v3
	s_cmp_gt_i32 s10, 1
	v_mad_u64_u32 v[4:5], s[22:23], s17, v0, v[4:5]
	s_cselect_b64 s[6:7], -1, 0
	s_lshl_b32 s20, s16, 6
	s_lshl_b64 s[22:23], s[24:25], 2
	s_add_u32 s12, s12, s22
	s_addc_u32 s13, s13, s23
	s_add_u32 s12, s12, s28
	s_addc_u32 s13, s13, s29
	v_mov_b32_e32 v3, v4
	s_add_u32 s12, s12, s26
	v_lshlrev_b64 v[2:3], 2, v[2:3]
	s_addc_u32 s13, s13, s27
	v_mov_b32_e32 v4, s13
	v_add_co_u32_e32 v2, vcc, s12, v2
	v_cmp_gt_i32_e64 s[2:3], s10, v0
	v_cmp_eq_u32_e64 s[14:15], 0, v0
	v_lshlrev_b32_e32 v11, 2, v0
	v_mul_lo_u32 v12, v0, s16
	v_addc_co_u32_e32 v3, vcc, v4, v3, vcc
	s_lshl_b64 s[12:13], s[16:17], 8
	v_mov_b32_e32 v13, 0
	v_pk_mov_b32 v[4:5], s[8:9], s[8:9] op_sel:[0,1]
	v_and_b32_e32 v15, 63, v14
	s_branch .LBB25_13
.LBB25_12:                              ;   in Loop: Header=BB25_13 Depth=1
	s_or_b64 exec, exec, s[8:9]
	s_add_u32 s24, s24, 64
	v_add_co_u32_e32 v2, vcc, 0x100, v2
	s_addc_u32 s25, s25, 0
	v_addc_co_u32_e32 v3, vcc, 0, v3, vcc
	v_cmp_ge_i64_e32 vcc, s[24:25], v[4:5]
	s_cbranch_vccnz .LBB25_28
.LBB25_13:                              ; =>This Loop Header: Depth=1
                                        ;     Child Loop BB25_15 Depth 2
                                        ;     Child Loop BB25_27 Depth 2
	v_mov_b32_e32 v8, 0
	s_and_saveexec_b64 s[8:9], s[2:3]
	s_cbranch_execz .LBB25_17
; %bb.14:                               ;   in Loop: Header=BB25_13 Depth=1
	s_lshl_b64 s[16:17], s[24:25], 2
	s_add_u32 s21, s18, s16
	s_addc_u32 s22, s19, s17
	s_mov_b64 s[16:17], 0
	v_mov_b32_e32 v8, 0
	v_mov_b32_e32 v9, s22
	;; [unrolled: 1-line block ×5, first 2 shown]
.LBB25_15:                              ;   Parent Loop BB25_13 Depth=1
                                        ; =>  This Inner Loop Header: Depth=2
	v_ashrrev_i32_e32 v7, 31, v6
	v_lshlrev_b64 v[18:19], 2, v[6:7]
	v_add_co_u32_e32 v18, vcc, s21, v18
	v_addc_co_u32_e32 v19, vcc, v9, v19, vcc
	global_load_dword v7, v[18:19], off
	ds_read_b32 v18, v16
	v_add_u32_e32 v17, 64, v17
	v_cmp_le_i32_e32 vcc, s10, v17
	v_add_u32_e32 v16, 0x100, v16
	v_add_u32_e32 v6, s20, v6
	s_or_b64 s[16:17], vcc, s[16:17]
	s_waitcnt vmcnt(0) lgkmcnt(0)
	v_mul_f32_e32 v7, v18, v7
	v_add_f32_e32 v8, v8, v7
	s_andn2_b64 exec, exec, s[16:17]
	s_cbranch_execnz .LBB25_15
; %bb.16:                               ;   in Loop: Header=BB25_13 Depth=1
	s_or_b64 exec, exec, s[16:17]
.LBB25_17:                              ;   in Loop: Header=BB25_13 Depth=1
	s_or_b64 exec, exec, s[8:9]
	s_and_b64 vcc, exec, s[6:7]
	s_cbranch_vccz .LBB25_22
; %bb.18:                               ;   in Loop: Header=BB25_13 Depth=1
	v_cmp_ne_u32_e32 vcc, 63, v15
	v_addc_co_u32_e32 v6, vcc, 0, v14, vcc
	v_lshlrev_b32_e32 v6, 2, v6
	ds_bpermute_b32 v6, v6, v8
	v_cmp_gt_u32_e32 vcc, 62, v15
	v_cndmask_b32_e64 v7, 0, 1, vcc
	v_lshlrev_b32_e32 v7, 1, v7
	v_add_lshl_u32 v7, v7, v14, 2
	s_waitcnt lgkmcnt(0)
	v_add_f32_e32 v6, v8, v6
	ds_bpermute_b32 v7, v7, v6
	v_cmp_gt_u32_e32 vcc, 60, v15
	v_cndmask_b32_e64 v9, 0, 1, vcc
	v_cmp_gt_u32_e32 vcc, 56, v15
	s_waitcnt lgkmcnt(0)
	v_add_f32_e32 v6, v6, v7
	v_lshlrev_b32_e32 v7, 2, v9
	v_add_lshl_u32 v7, v7, v14, 2
	ds_bpermute_b32 v7, v7, v6
	v_cndmask_b32_e64 v9, 0, 1, vcc
	v_cmp_gt_u32_e32 vcc, 48, v15
	s_waitcnt lgkmcnt(0)
	v_add_f32_e32 v6, v6, v7
	v_lshlrev_b32_e32 v7, 3, v9
	v_add_lshl_u32 v7, v7, v14, 2
	ds_bpermute_b32 v7, v7, v6
	v_cndmask_b32_e64 v9, 0, 1, vcc
	v_cmp_gt_u32_e32 vcc, 32, v15
	s_waitcnt lgkmcnt(0)
	v_add_f32_e32 v6, v6, v7
	v_lshlrev_b32_e32 v7, 4, v9
	v_add_lshl_u32 v7, v7, v14, 2
	ds_bpermute_b32 v7, v7, v6
	v_cndmask_b32_e64 v9, 0, 1, vcc
	s_waitcnt lgkmcnt(0)
	v_add_f32_e32 v6, v6, v7
	v_lshlrev_b32_e32 v7, 5, v9
	v_add_lshl_u32 v7, v7, v14, 2
	ds_bpermute_b32 v7, v7, v6
	s_waitcnt lgkmcnt(0)
	v_add_f32_e32 v6, v6, v7
	s_and_saveexec_b64 s[8:9], s[14:15]
	s_cbranch_execz .LBB25_20
; %bb.19:                               ;   in Loop: Header=BB25_13 Depth=1
	ds_write_b32 v10, v6 offset:8192
.LBB25_20:                              ;   in Loop: Header=BB25_13 Depth=1
	s_or_b64 exec, exec, s[8:9]
	s_waitcnt lgkmcnt(0)
	; wave barrier
	s_waitcnt lgkmcnt(0)
	s_mov_b64 s[8:9], s[14:15]
.LBB25_21:                              ;   in Loop: Header=BB25_13 Depth=1
	v_mov_b32_e32 v8, v6
	s_and_saveexec_b64 s[16:17], s[8:9]
	s_cbranch_execnz .LBB25_24
	s_branch .LBB25_25
.LBB25_22:                              ;   in Loop: Header=BB25_13 Depth=1
	s_mov_b64 s[8:9], 0
                                        ; implicit-def: $vgpr6
	s_cbranch_execz .LBB25_21
; %bb.23:                               ;   in Loop: Header=BB25_13 Depth=1
	s_andn2_b64 s[8:9], s[8:9], exec
	s_and_b64 s[16:17], s[14:15], exec
	s_or_b64 s[8:9], s[8:9], s[16:17]
	s_and_saveexec_b64 s[16:17], s[8:9]
	s_cbranch_execz .LBB25_25
.LBB25_24:                              ;   in Loop: Header=BB25_13 Depth=1
	ds_write_b32 v13, v8 offset:8192
.LBB25_25:                              ;   in Loop: Header=BB25_13 Depth=1
	s_or_b64 exec, exec, s[16:17]
	s_waitcnt lgkmcnt(0)
	; wave barrier
	s_waitcnt lgkmcnt(0)
	s_and_saveexec_b64 s[8:9], s[0:1]
	s_cbranch_execz .LBB25_12
; %bb.26:                               ;   in Loop: Header=BB25_13 Depth=1
	global_load_dword v8, v13, s[4:5]
	ds_read_b32 v9, v13 offset:8192
	s_mov_b64 s[16:17], 0
	v_mov_b32_e32 v16, v11
	v_pk_mov_b32 v[6:7], v[2:3], v[2:3] op_sel:[0,1]
	s_waitcnt vmcnt(0) lgkmcnt(0)
	v_mul_f32_e64 v17, v9, -v8
	v_pk_mov_b32 v[8:9], v[0:1], v[0:1] op_sel:[0,1]
.LBB25_27:                              ;   Parent Loop BB25_13 Depth=1
                                        ; =>  This Inner Loop Header: Depth=2
	global_load_dword v18, v[6:7], off
	ds_read_b32 v19, v16
	v_add_co_u32_e32 v8, vcc, 64, v8
	v_addc_co_u32_e32 v9, vcc, 0, v9, vcc
	v_cmp_le_i64_e32 vcc, s[10:11], v[8:9]
	v_mov_b32_e32 v20, s13
	s_or_b64 s[16:17], vcc, s[16:17]
	v_add_u32_e32 v16, 0x100, v16
	s_waitcnt vmcnt(0) lgkmcnt(0)
	v_fmac_f32_e32 v18, v17, v19
	global_store_dword v[6:7], v18, off
	v_add_co_u32_e32 v6, vcc, s12, v6
	v_addc_co_u32_e32 v7, vcc, v7, v20, vcc
	s_andn2_b64 exec, exec, s[16:17]
	s_cbranch_execnz .LBB25_27
	s_branch .LBB25_12
.LBB25_28:
	s_endpgm
	.section	.rodata,"a",@progbits
	.p2align	6, 0x0
	.amdhsa_kernel _ZN9rocsolver6v33100L23larf_right_kernel_smallILi64EflPfEEvT1_S3_T2_lS3_lPKT0_lS4_lS3_l
		.amdhsa_group_segment_fixed_size 8196
		.amdhsa_private_segment_fixed_size 0
		.amdhsa_kernarg_size 96
		.amdhsa_user_sgpr_count 6
		.amdhsa_user_sgpr_private_segment_buffer 1
		.amdhsa_user_sgpr_dispatch_ptr 0
		.amdhsa_user_sgpr_queue_ptr 0
		.amdhsa_user_sgpr_kernarg_segment_ptr 1
		.amdhsa_user_sgpr_dispatch_id 0
		.amdhsa_user_sgpr_flat_scratch_init 0
		.amdhsa_user_sgpr_kernarg_preload_length 0
		.amdhsa_user_sgpr_kernarg_preload_offset 0
		.amdhsa_user_sgpr_private_segment_size 0
		.amdhsa_uses_dynamic_stack 0
		.amdhsa_system_sgpr_private_segment_wavefront_offset 0
		.amdhsa_system_sgpr_workgroup_id_x 1
		.amdhsa_system_sgpr_workgroup_id_y 1
		.amdhsa_system_sgpr_workgroup_id_z 0
		.amdhsa_system_sgpr_workgroup_info 0
		.amdhsa_system_vgpr_workitem_id 0
		.amdhsa_next_free_vgpr 21
		.amdhsa_next_free_sgpr 38
		.amdhsa_accum_offset 24
		.amdhsa_reserve_vcc 1
		.amdhsa_reserve_flat_scratch 0
		.amdhsa_float_round_mode_32 0
		.amdhsa_float_round_mode_16_64 0
		.amdhsa_float_denorm_mode_32 3
		.amdhsa_float_denorm_mode_16_64 3
		.amdhsa_dx10_clamp 1
		.amdhsa_ieee_mode 1
		.amdhsa_fp16_overflow 0
		.amdhsa_tg_split 0
		.amdhsa_exception_fp_ieee_invalid_op 0
		.amdhsa_exception_fp_denorm_src 0
		.amdhsa_exception_fp_ieee_div_zero 0
		.amdhsa_exception_fp_ieee_overflow 0
		.amdhsa_exception_fp_ieee_underflow 0
		.amdhsa_exception_fp_ieee_inexact 0
		.amdhsa_exception_int_div_zero 0
	.end_amdhsa_kernel
	.section	.text._ZN9rocsolver6v33100L23larf_right_kernel_smallILi64EflPfEEvT1_S3_T2_lS3_lPKT0_lS4_lS3_l,"axG",@progbits,_ZN9rocsolver6v33100L23larf_right_kernel_smallILi64EflPfEEvT1_S3_T2_lS3_lPKT0_lS4_lS3_l,comdat
.Lfunc_end25:
	.size	_ZN9rocsolver6v33100L23larf_right_kernel_smallILi64EflPfEEvT1_S3_T2_lS3_lPKT0_lS4_lS3_l, .Lfunc_end25-_ZN9rocsolver6v33100L23larf_right_kernel_smallILi64EflPfEEvT1_S3_T2_lS3_lPKT0_lS4_lS3_l
                                        ; -- End function
	.section	.AMDGPU.csdata,"",@progbits
; Kernel info:
; codeLenInByte = 1576
; NumSgprs: 42
; NumVgprs: 21
; NumAgprs: 0
; TotalNumVgprs: 21
; ScratchSize: 0
; MemoryBound: 0
; FloatMode: 240
; IeeeMode: 1
; LDSByteSize: 8196 bytes/workgroup (compile time only)
; SGPRBlocks: 5
; VGPRBlocks: 2
; NumSGPRsForWavesPerEU: 42
; NumVGPRsForWavesPerEU: 21
; AccumOffset: 24
; Occupancy: 2
; WaveLimiterHint : 0
; COMPUTE_PGM_RSRC2:SCRATCH_EN: 0
; COMPUTE_PGM_RSRC2:USER_SGPR: 6
; COMPUTE_PGM_RSRC2:TRAP_HANDLER: 0
; COMPUTE_PGM_RSRC2:TGID_X_EN: 1
; COMPUTE_PGM_RSRC2:TGID_Y_EN: 1
; COMPUTE_PGM_RSRC2:TGID_Z_EN: 0
; COMPUTE_PGM_RSRC2:TIDIG_COMP_CNT: 0
; COMPUTE_PGM_RSRC3_GFX90A:ACCUM_OFFSET: 5
; COMPUTE_PGM_RSRC3_GFX90A:TG_SPLIT: 0
	.section	.text._ZN9rocsolver6v33100L23larf_right_kernel_smallILi128EflPfEEvT1_S3_T2_lS3_lPKT0_lS4_lS3_l,"axG",@progbits,_ZN9rocsolver6v33100L23larf_right_kernel_smallILi128EflPfEEvT1_S3_T2_lS3_lPKT0_lS4_lS3_l,comdat
	.globl	_ZN9rocsolver6v33100L23larf_right_kernel_smallILi128EflPfEEvT1_S3_T2_lS3_lPKT0_lS4_lS3_l ; -- Begin function _ZN9rocsolver6v33100L23larf_right_kernel_smallILi128EflPfEEvT1_S3_T2_lS3_lPKT0_lS4_lS3_l
	.p2align	8
	.type	_ZN9rocsolver6v33100L23larf_right_kernel_smallILi128EflPfEEvT1_S3_T2_lS3_lPKT0_lS4_lS3_l,@function
_ZN9rocsolver6v33100L23larf_right_kernel_smallILi128EflPfEEvT1_S3_T2_lS3_lPKT0_lS4_lS3_l: ; @_ZN9rocsolver6v33100L23larf_right_kernel_smallILi128EflPfEEvT1_S3_T2_lS3_lPKT0_lS4_lS3_l
; %bb.0:
	s_load_dwordx16 s[8:23], s[4:5], 0x0
	s_mov_b32 s24, s7
	s_mov_b64 s[28:29], 0
	s_waitcnt lgkmcnt(0)
	v_cmp_gt_i64_e64 s[0:1], s[16:17], 0
	s_and_b64 vcc, exec, s[0:1]
	s_cbranch_vccnz .LBB26_2
; %bb.1:
	s_sub_u32 s0, 1, s10
	s_subb_u32 s1, 0, s11
	s_mul_i32 s2, s0, s17
	s_mul_hi_u32 s3, s0, s16
	s_add_i32 s2, s3, s2
	s_mul_i32 s1, s1, s16
	s_add_i32 s29, s2, s1
	s_mul_i32 s28, s0, s16
.LBB26_2:
	v_mov_b32_e32 v1, 0
	s_mov_b32 s25, 0
	v_cmp_gt_i64_e64 s[0:1], s[10:11], v[0:1]
	s_and_saveexec_b64 s[26:27], s[0:1]
	s_cbranch_execz .LBB26_10
; %bb.3:
	v_not_b32_e32 v3, v0
	s_mul_i32 s2, s6, s19
	s_mul_hi_u32 s3, s6, s18
	v_not_b32_e32 v2, 0
	v_mov_b32_e32 v5, s11
	v_add_co_u32_e32 v4, vcc, s10, v3
	s_add_i32 s19, s3, s2
	v_addc_co_u32_e32 v5, vcc, v2, v5, vcc
	s_mov_b64 s[2:3], 0x7f
	s_mul_i32 s18, s6, s18
	v_cmp_lt_u64_e32 vcc, s[2:3], v[4:5]
	s_mov_b64 s[2:3], -1
	v_pk_mov_b32 v[2:3], v[0:1], v[0:1] op_sel:[0,1]
	s_and_saveexec_b64 s[30:31], vcc
	s_cbranch_execz .LBB26_7
; %bb.4:
	s_lshl_b64 s[2:3], s[18:19], 2
	s_add_u32 s7, s12, s2
	s_addc_u32 s33, s13, s3
	s_lshl_b64 s[2:3], s[14:15], 2
	s_add_u32 s7, s7, s2
	v_lshrrev_b64 v[2:3], 7, v[4:5]
	s_addc_u32 s33, s33, s3
	s_lshl_b64 s[2:3], s[28:29], 2
	v_add_co_u32_e32 v6, vcc, 1, v2
	s_add_u32 s7, s7, s2
	v_addc_co_u32_e32 v7, vcc, 0, v3, vcc
	v_or_b32_e32 v2, 0x80, v0
	v_mov_b32_e32 v3, v1
	s_addc_u32 s2, s33, s3
	v_and_b32_e32 v8, -2, v6
	v_mov_b32_e32 v9, v7
	v_pk_mov_b32 v[4:5], v[2:3], v[2:3] op_sel:[0,1]
	s_mov_b32 s33, s16
	s_mov_b32 s36, s17
	s_mov_b64 s[34:35], 0
	v_mov_b32_e32 v12, s2
	s_movk_i32 s37, 0x100
	v_pk_mov_b32 v[10:11], v[8:9], v[8:9] op_sel:[0,1]
	v_pk_mov_b32 v[2:3], v[0:1], v[0:1] op_sel:[0,1]
.LBB26_5:                               ; =>This Inner Loop Header: Depth=1
	v_mul_lo_u32 v19, v3, s16
	v_mul_lo_u32 v20, v2, s17
	v_mad_u64_u32 v[16:17], s[2:3], v2, s16, 0
	v_add3_u32 v17, v17, v20, v19
	v_mul_lo_u32 v13, v5, s33
	v_mul_lo_u32 v18, v4, s36
	v_mad_u64_u32 v[14:15], s[2:3], v4, s33, 0
	v_lshlrev_b64 v[16:17], 2, v[16:17]
	v_add3_u32 v15, v15, v18, v13
	v_add_co_u32_e32 v16, vcc, s7, v16
	v_lshlrev_b64 v[14:15], 2, v[14:15]
	v_addc_co_u32_e32 v17, vcc, v12, v17, vcc
	v_add_co_u32_e32 v14, vcc, s7, v14
	v_addc_co_u32_e32 v15, vcc, v12, v15, vcc
	global_load_dword v13, v[16:17], off
	global_load_dword v18, v[14:15], off
	v_lshlrev_b32_e32 v15, 2, v4
	v_add_co_u32_e32 v4, vcc, s37, v4
	v_add_co_u32_e64 v10, s[2:3], -2, v10
	v_addc_co_u32_e64 v11, s[2:3], -1, v11, s[2:3]
	v_addc_co_u32_e32 v5, vcc, 0, v5, vcc
	v_lshlrev_b32_e32 v14, 2, v2
	v_add_co_u32_e32 v2, vcc, 0x100, v2
	v_cmp_eq_u64_e64 s[2:3], 0, v[10:11]
	v_addc_co_u32_e32 v3, vcc, 0, v3, vcc
	s_or_b64 s[34:35], s[2:3], s[34:35]
	s_waitcnt vmcnt(1)
	ds_write_b32 v14, v13
	s_waitcnt vmcnt(0)
	ds_write_b32 v15, v18
	s_andn2_b64 exec, exec, s[34:35]
	s_cbranch_execnz .LBB26_5
; %bb.6:
	s_or_b64 exec, exec, s[34:35]
	v_lshlrev_b64 v[2:3], 7, v[8:9]
	v_cmp_ne_u64_e32 vcc, v[6:7], v[8:9]
	v_or_b32_e32 v3, 0, v3
	v_or_b32_e32 v2, v2, v0
	s_orn2_b64 s[2:3], vcc, exec
.LBB26_7:
	s_or_b64 exec, exec, s[30:31]
	s_and_b64 exec, exec, s[2:3]
	s_cbranch_execz .LBB26_10
; %bb.8:
	v_mad_u64_u32 v[4:5], s[2:3], v2, s16, 0
	s_lshl_b64 s[2:3], s[18:19], 2
	s_lshl_b64 s[18:19], s[28:29], 2
	;; [unrolled: 1-line block ×3, first 2 shown]
	s_add_u32 s7, s12, s14
	s_addc_u32 s12, s13, s15
	s_add_u32 s7, s7, s18
	v_mul_lo_u32 v6, v3, s16
	v_mul_lo_u32 v7, v2, s17
	s_addc_u32 s12, s12, s19
	v_add3_u32 v5, v5, v7, v6
	s_add_u32 s2, s7, s2
	v_lshlrev_b64 v[4:5], 2, v[4:5]
	s_addc_u32 s3, s12, s3
	v_mov_b32_e32 v6, s3
	v_add_co_u32_e32 v4, vcc, s2, v4
	s_lshl_b64 s[12:13], s[16:17], 9
	v_addc_co_u32_e32 v5, vcc, v6, v5, vcc
	v_lshlrev_b32_e32 v6, 2, v2
	s_mov_b64 s[14:15], 0
	v_mov_b32_e32 v7, s13
.LBB26_9:                               ; =>This Inner Loop Header: Depth=1
	global_load_dword v8, v[4:5], off
	v_add_co_u32_e32 v2, vcc, 0x80, v2
	v_addc_co_u32_e32 v3, vcc, 0, v3, vcc
	v_add_co_u32_e64 v4, s[2:3], s12, v4
	v_cmp_le_i64_e32 vcc, s[10:11], v[2:3]
	v_addc_co_u32_e64 v5, s[2:3], v5, v7, s[2:3]
	s_or_b64 s[14:15], vcc, s[14:15]
	s_waitcnt vmcnt(0)
	ds_write_b32 v6, v8
	v_add_u32_e32 v6, 0x200, v6
	s_andn2_b64 exec, exec, s[14:15]
	s_cbranch_execnz .LBB26_9
.LBB26_10:
	s_or_b64 exec, exec, s[26:27]
	v_pk_mov_b32 v[2:3], s[8:9], s[8:9] op_sel:[0,1]
	v_cmp_ge_i64_e32 vcc, s[24:25], v[2:3]
	s_waitcnt lgkmcnt(0)
	s_barrier
	s_cbranch_vccnz .LBB26_30
; %bb.11:
	s_load_dwordx8 s[12:19], s[4:5], 0x40
	s_mul_i32 s4, s6, s23
	v_and_b32_e32 v2, 63, v0
	v_mbcnt_lo_u32_b32 v6, -1, 0
	v_mbcnt_hi_u32_b32 v14, -1, v6
	s_waitcnt lgkmcnt(0)
	s_mul_i32 s3, s6, s19
	s_mul_hi_u32 s5, s6, s18
	s_mul_i32 s2, s6, s18
	s_add_i32 s3, s5, s3
	s_lshl_b64 s[28:29], s[2:3], 2
	s_add_u32 s2, s12, s28
	s_addc_u32 s3, s13, s29
	s_lshl_b64 s[30:31], s[14:15], 2
	s_add_u32 s23, s2, s30
	s_mul_hi_u32 s2, s6, s22
	s_addc_u32 s26, s3, s31
	s_add_i32 s3, s2, s4
	s_mul_i32 s2, s6, s22
	s_lshl_b64 s[2:3], s[2:3], 2
	s_add_u32 s14, s20, s2
	s_addc_u32 s15, s21, s3
	v_cmp_eq_u32_e64 s[4:5], 0, v2
	v_mad_u64_u32 v[2:3], s[20:21], s16, v0, 0
	v_mov_b32_e32 v4, v3
	s_cmp_gt_i32 s10, 1
	v_mad_u64_u32 v[4:5], s[20:21], s17, v0, v[4:5]
	s_cselect_b64 s[18:19], -1, 0
	s_lshl_b32 s22, s16, 7
	s_lshl_b64 s[20:21], s[24:25], 2
	s_add_u32 s12, s12, s20
	s_addc_u32 s13, s13, s21
	s_add_u32 s12, s12, s30
	s_addc_u32 s13, s13, s31
	v_mov_b32_e32 v3, v4
	s_add_u32 s12, s12, s28
	v_lshlrev_b64 v[2:3], 2, v[2:3]
	s_addc_u32 s13, s13, s29
	v_mov_b32_e32 v4, s13
	v_add_co_u32_e32 v2, vcc, s12, v2
	v_cmp_gt_i32_e64 s[2:3], s10, v0
	v_lshrrev_b32_e32 v10, 4, v0
	v_cmp_eq_u32_e64 s[6:7], 0, v0
	v_lshlrev_b32_e32 v11, 2, v0
	v_mul_lo_u32 v12, v0, s16
	v_addc_co_u32_e32 v3, vcc, v4, v3, vcc
	s_lshl_b64 s[12:13], s[16:17], 9
	v_mov_b32_e32 v13, 0
	v_pk_mov_b32 v[4:5], s[8:9], s[8:9] op_sel:[0,1]
	v_and_b32_e32 v15, 63, v14
	s_branch .LBB26_13
.LBB26_12:                              ;   in Loop: Header=BB26_13 Depth=1
	s_or_b64 exec, exec, s[8:9]
	s_add_u32 s24, s24, 64
	v_add_co_u32_e32 v2, vcc, 0x100, v2
	s_addc_u32 s25, s25, 0
	v_addc_co_u32_e32 v3, vcc, 0, v3, vcc
	v_cmp_ge_i64_e32 vcc, s[24:25], v[4:5]
	s_cbranch_vccnz .LBB26_30
.LBB26_13:                              ; =>This Loop Header: Depth=1
                                        ;     Child Loop BB26_15 Depth 2
                                        ;     Child Loop BB26_29 Depth 2
	v_mov_b32_e32 v8, 0
	s_and_saveexec_b64 s[8:9], s[2:3]
	s_cbranch_execz .LBB26_17
; %bb.14:                               ;   in Loop: Header=BB26_13 Depth=1
	s_lshl_b64 s[16:17], s[24:25], 2
	s_add_u32 s20, s23, s16
	s_addc_u32 s21, s26, s17
	s_mov_b64 s[16:17], 0
	v_mov_b32_e32 v8, 0
	v_mov_b32_e32 v9, s21
	;; [unrolled: 1-line block ×5, first 2 shown]
.LBB26_15:                              ;   Parent Loop BB26_13 Depth=1
                                        ; =>  This Inner Loop Header: Depth=2
	v_ashrrev_i32_e32 v7, 31, v6
	v_lshlrev_b64 v[18:19], 2, v[6:7]
	v_add_co_u32_e32 v18, vcc, s20, v18
	v_addc_co_u32_e32 v19, vcc, v9, v19, vcc
	global_load_dword v7, v[18:19], off
	ds_read_b32 v18, v16
	v_add_u32_e32 v17, 0x80, v17
	v_cmp_le_i32_e32 vcc, s10, v17
	v_add_u32_e32 v16, 0x200, v16
	v_add_u32_e32 v6, s22, v6
	s_or_b64 s[16:17], vcc, s[16:17]
	s_waitcnt vmcnt(0) lgkmcnt(0)
	v_mul_f32_e32 v7, v18, v7
	v_add_f32_e32 v8, v8, v7
	s_andn2_b64 exec, exec, s[16:17]
	s_cbranch_execnz .LBB26_15
; %bb.16:                               ;   in Loop: Header=BB26_13 Depth=1
	s_or_b64 exec, exec, s[16:17]
.LBB26_17:                              ;   in Loop: Header=BB26_13 Depth=1
	s_or_b64 exec, exec, s[8:9]
	s_and_b64 vcc, exec, s[18:19]
	s_cbranch_vccz .LBB26_24
; %bb.18:                               ;   in Loop: Header=BB26_13 Depth=1
	v_cmp_ne_u32_e32 vcc, 63, v15
	v_addc_co_u32_e32 v6, vcc, 0, v14, vcc
	v_lshlrev_b32_e32 v6, 2, v6
	ds_bpermute_b32 v6, v6, v8
	v_cmp_gt_u32_e32 vcc, 62, v15
	v_cndmask_b32_e64 v7, 0, 1, vcc
	v_lshlrev_b32_e32 v7, 1, v7
	v_add_lshl_u32 v7, v7, v14, 2
	s_waitcnt lgkmcnt(0)
	v_add_f32_e32 v6, v8, v6
	ds_bpermute_b32 v7, v7, v6
	v_cmp_gt_u32_e32 vcc, 60, v15
	v_cndmask_b32_e64 v9, 0, 1, vcc
	v_cmp_gt_u32_e32 vcc, 56, v15
	s_waitcnt lgkmcnt(0)
	v_add_f32_e32 v6, v6, v7
	v_lshlrev_b32_e32 v7, 2, v9
	v_add_lshl_u32 v7, v7, v14, 2
	ds_bpermute_b32 v7, v7, v6
	v_cndmask_b32_e64 v9, 0, 1, vcc
	v_cmp_gt_u32_e32 vcc, 48, v15
	s_waitcnt lgkmcnt(0)
	v_add_f32_e32 v6, v6, v7
	v_lshlrev_b32_e32 v7, 3, v9
	v_add_lshl_u32 v7, v7, v14, 2
	ds_bpermute_b32 v7, v7, v6
	;; [unrolled: 7-line block ×3, first 2 shown]
	v_cndmask_b32_e64 v9, 0, 1, vcc
	s_waitcnt lgkmcnt(0)
	v_add_f32_e32 v6, v6, v7
	v_lshlrev_b32_e32 v7, 5, v9
	v_add_lshl_u32 v7, v7, v14, 2
	ds_bpermute_b32 v7, v7, v6
	s_waitcnt lgkmcnt(0)
	v_add_f32_e32 v7, v6, v7
	s_and_saveexec_b64 s[8:9], s[4:5]
	s_cbranch_execz .LBB26_20
; %bb.19:                               ;   in Loop: Header=BB26_13 Depth=1
	ds_write_b32 v10, v7 offset:8192
.LBB26_20:                              ;   in Loop: Header=BB26_13 Depth=1
	s_or_b64 exec, exec, s[8:9]
	s_mov_b64 s[16:17], 0
	s_mov_b64 s[8:9], 0
	s_waitcnt lgkmcnt(0)
	s_barrier
	s_waitcnt lgkmcnt(0)
                                        ; implicit-def: $vgpr6
	s_and_saveexec_b64 s[20:21], s[6:7]
	s_xor_b64 s[20:21], exec, s[20:21]
	s_cbranch_execz .LBB26_22
; %bb.21:                               ;   in Loop: Header=BB26_13 Depth=1
	ds_read_b32 v6, v13 offset:8196
	s_mov_b64 s[8:9], exec
	s_waitcnt lgkmcnt(0)
	v_add_f32_e32 v6, v7, v6
.LBB26_22:                              ;   in Loop: Header=BB26_13 Depth=1
	s_or_b64 exec, exec, s[20:21]
	s_and_b64 vcc, exec, s[16:17]
	s_cbranch_vccnz .LBB26_25
.LBB26_23:                              ;   in Loop: Header=BB26_13 Depth=1
	v_mov_b32_e32 v8, v6
	s_and_saveexec_b64 s[16:17], s[8:9]
	s_cbranch_execnz .LBB26_26
	s_branch .LBB26_27
.LBB26_24:                              ;   in Loop: Header=BB26_13 Depth=1
	s_mov_b64 s[8:9], 0
                                        ; implicit-def: $vgpr6
	s_cbranch_execz .LBB26_23
.LBB26_25:                              ;   in Loop: Header=BB26_13 Depth=1
	s_andn2_b64 s[8:9], s[8:9], exec
	s_and_b64 s[16:17], s[6:7], exec
	s_or_b64 s[8:9], s[8:9], s[16:17]
	s_and_saveexec_b64 s[16:17], s[8:9]
	s_cbranch_execz .LBB26_27
.LBB26_26:                              ;   in Loop: Header=BB26_13 Depth=1
	ds_write_b32 v13, v8 offset:8192
.LBB26_27:                              ;   in Loop: Header=BB26_13 Depth=1
	s_or_b64 exec, exec, s[16:17]
	s_waitcnt lgkmcnt(0)
	s_barrier
	s_and_saveexec_b64 s[8:9], s[0:1]
	s_cbranch_execz .LBB26_12
; %bb.28:                               ;   in Loop: Header=BB26_13 Depth=1
	global_load_dword v8, v13, s[14:15]
	ds_read_b32 v9, v13 offset:8192
	s_mov_b64 s[16:17], 0
	v_mov_b32_e32 v16, v11
	v_pk_mov_b32 v[6:7], v[2:3], v[2:3] op_sel:[0,1]
	s_waitcnt vmcnt(0) lgkmcnt(0)
	v_mul_f32_e64 v17, v9, -v8
	v_pk_mov_b32 v[8:9], v[0:1], v[0:1] op_sel:[0,1]
.LBB26_29:                              ;   Parent Loop BB26_13 Depth=1
                                        ; =>  This Inner Loop Header: Depth=2
	global_load_dword v18, v[6:7], off
	ds_read_b32 v19, v16
	v_add_co_u32_e32 v8, vcc, 0x80, v8
	v_addc_co_u32_e32 v9, vcc, 0, v9, vcc
	v_cmp_le_i64_e32 vcc, s[10:11], v[8:9]
	v_mov_b32_e32 v20, s13
	s_or_b64 s[16:17], vcc, s[16:17]
	v_add_u32_e32 v16, 0x200, v16
	s_waitcnt vmcnt(0) lgkmcnt(0)
	v_fmac_f32_e32 v18, v17, v19
	global_store_dword v[6:7], v18, off
	v_add_co_u32_e32 v6, vcc, s12, v6
	v_addc_co_u32_e32 v7, vcc, v7, v20, vcc
	s_andn2_b64 exec, exec, s[16:17]
	s_cbranch_execnz .LBB26_29
	s_branch .LBB26_12
.LBB26_30:
	s_endpgm
	.section	.rodata,"a",@progbits
	.p2align	6, 0x0
	.amdhsa_kernel _ZN9rocsolver6v33100L23larf_right_kernel_smallILi128EflPfEEvT1_S3_T2_lS3_lPKT0_lS4_lS3_l
		.amdhsa_group_segment_fixed_size 8200
		.amdhsa_private_segment_fixed_size 0
		.amdhsa_kernarg_size 96
		.amdhsa_user_sgpr_count 6
		.amdhsa_user_sgpr_private_segment_buffer 1
		.amdhsa_user_sgpr_dispatch_ptr 0
		.amdhsa_user_sgpr_queue_ptr 0
		.amdhsa_user_sgpr_kernarg_segment_ptr 1
		.amdhsa_user_sgpr_dispatch_id 0
		.amdhsa_user_sgpr_flat_scratch_init 0
		.amdhsa_user_sgpr_kernarg_preload_length 0
		.amdhsa_user_sgpr_kernarg_preload_offset 0
		.amdhsa_user_sgpr_private_segment_size 0
		.amdhsa_uses_dynamic_stack 0
		.amdhsa_system_sgpr_private_segment_wavefront_offset 0
		.amdhsa_system_sgpr_workgroup_id_x 1
		.amdhsa_system_sgpr_workgroup_id_y 1
		.amdhsa_system_sgpr_workgroup_id_z 0
		.amdhsa_system_sgpr_workgroup_info 0
		.amdhsa_system_vgpr_workitem_id 0
		.amdhsa_next_free_vgpr 21
		.amdhsa_next_free_sgpr 38
		.amdhsa_accum_offset 24
		.amdhsa_reserve_vcc 1
		.amdhsa_reserve_flat_scratch 0
		.amdhsa_float_round_mode_32 0
		.amdhsa_float_round_mode_16_64 0
		.amdhsa_float_denorm_mode_32 3
		.amdhsa_float_denorm_mode_16_64 3
		.amdhsa_dx10_clamp 1
		.amdhsa_ieee_mode 1
		.amdhsa_fp16_overflow 0
		.amdhsa_tg_split 0
		.amdhsa_exception_fp_ieee_invalid_op 0
		.amdhsa_exception_fp_denorm_src 0
		.amdhsa_exception_fp_ieee_div_zero 0
		.amdhsa_exception_fp_ieee_overflow 0
		.amdhsa_exception_fp_ieee_underflow 0
		.amdhsa_exception_fp_ieee_inexact 0
		.amdhsa_exception_int_div_zero 0
	.end_amdhsa_kernel
	.section	.text._ZN9rocsolver6v33100L23larf_right_kernel_smallILi128EflPfEEvT1_S3_T2_lS3_lPKT0_lS4_lS3_l,"axG",@progbits,_ZN9rocsolver6v33100L23larf_right_kernel_smallILi128EflPfEEvT1_S3_T2_lS3_lPKT0_lS4_lS3_l,comdat
.Lfunc_end26:
	.size	_ZN9rocsolver6v33100L23larf_right_kernel_smallILi128EflPfEEvT1_S3_T2_lS3_lPKT0_lS4_lS3_l, .Lfunc_end26-_ZN9rocsolver6v33100L23larf_right_kernel_smallILi128EflPfEEvT1_S3_T2_lS3_lPKT0_lS4_lS3_l
                                        ; -- End function
	.section	.AMDGPU.csdata,"",@progbits
; Kernel info:
; codeLenInByte = 1672
; NumSgprs: 42
; NumVgprs: 21
; NumAgprs: 0
; TotalNumVgprs: 21
; ScratchSize: 0
; MemoryBound: 0
; FloatMode: 240
; IeeeMode: 1
; LDSByteSize: 8200 bytes/workgroup (compile time only)
; SGPRBlocks: 5
; VGPRBlocks: 2
; NumSGPRsForWavesPerEU: 42
; NumVGPRsForWavesPerEU: 21
; AccumOffset: 24
; Occupancy: 4
; WaveLimiterHint : 0
; COMPUTE_PGM_RSRC2:SCRATCH_EN: 0
; COMPUTE_PGM_RSRC2:USER_SGPR: 6
; COMPUTE_PGM_RSRC2:TRAP_HANDLER: 0
; COMPUTE_PGM_RSRC2:TGID_X_EN: 1
; COMPUTE_PGM_RSRC2:TGID_Y_EN: 1
; COMPUTE_PGM_RSRC2:TGID_Z_EN: 0
; COMPUTE_PGM_RSRC2:TIDIG_COMP_CNT: 0
; COMPUTE_PGM_RSRC3_GFX90A:ACCUM_OFFSET: 5
; COMPUTE_PGM_RSRC3_GFX90A:TG_SPLIT: 0
	.section	.text._ZN9rocsolver6v33100L23larf_right_kernel_smallILi256EflPfEEvT1_S3_T2_lS3_lPKT0_lS4_lS3_l,"axG",@progbits,_ZN9rocsolver6v33100L23larf_right_kernel_smallILi256EflPfEEvT1_S3_T2_lS3_lPKT0_lS4_lS3_l,comdat
	.globl	_ZN9rocsolver6v33100L23larf_right_kernel_smallILi256EflPfEEvT1_S3_T2_lS3_lPKT0_lS4_lS3_l ; -- Begin function _ZN9rocsolver6v33100L23larf_right_kernel_smallILi256EflPfEEvT1_S3_T2_lS3_lPKT0_lS4_lS3_l
	.p2align	8
	.type	_ZN9rocsolver6v33100L23larf_right_kernel_smallILi256EflPfEEvT1_S3_T2_lS3_lPKT0_lS4_lS3_l,@function
_ZN9rocsolver6v33100L23larf_right_kernel_smallILi256EflPfEEvT1_S3_T2_lS3_lPKT0_lS4_lS3_l: ; @_ZN9rocsolver6v33100L23larf_right_kernel_smallILi256EflPfEEvT1_S3_T2_lS3_lPKT0_lS4_lS3_l
; %bb.0:
	s_load_dwordx16 s[8:23], s[4:5], 0x0
	s_mov_b32 s24, s7
	s_mov_b64 s[28:29], 0
	s_waitcnt lgkmcnt(0)
	v_cmp_gt_i64_e64 s[0:1], s[16:17], 0
	s_and_b64 vcc, exec, s[0:1]
	s_cbranch_vccnz .LBB27_2
; %bb.1:
	s_sub_u32 s0, 1, s10
	s_subb_u32 s1, 0, s11
	s_mul_i32 s2, s0, s17
	s_mul_hi_u32 s3, s0, s16
	s_add_i32 s2, s3, s2
	s_mul_i32 s1, s1, s16
	s_add_i32 s29, s2, s1
	s_mul_i32 s28, s0, s16
.LBB27_2:
	v_mov_b32_e32 v1, 0
	s_mov_b32 s25, 0
	v_cmp_gt_i64_e64 s[0:1], s[10:11], v[0:1]
	s_and_saveexec_b64 s[26:27], s[0:1]
	s_cbranch_execz .LBB27_10
; %bb.3:
	v_not_b32_e32 v3, v0
	s_mul_i32 s2, s6, s19
	s_mul_hi_u32 s3, s6, s18
	v_not_b32_e32 v2, 0
	v_mov_b32_e32 v5, s11
	v_add_co_u32_e32 v4, vcc, s10, v3
	s_add_i32 s19, s3, s2
	v_addc_co_u32_e32 v5, vcc, v2, v5, vcc
	s_mov_b64 s[2:3], 0xff
	s_mul_i32 s18, s6, s18
	v_cmp_lt_u64_e32 vcc, s[2:3], v[4:5]
	s_mov_b64 s[2:3], -1
	v_pk_mov_b32 v[2:3], v[0:1], v[0:1] op_sel:[0,1]
	s_and_saveexec_b64 s[30:31], vcc
	s_cbranch_execz .LBB27_7
; %bb.4:
	s_lshl_b64 s[2:3], s[18:19], 2
	s_add_u32 s7, s12, s2
	s_addc_u32 s33, s13, s3
	s_lshl_b64 s[2:3], s[14:15], 2
	s_add_u32 s7, s7, s2
	v_lshrrev_b64 v[2:3], 8, v[4:5]
	s_addc_u32 s33, s33, s3
	s_lshl_b64 s[2:3], s[28:29], 2
	v_add_co_u32_e32 v6, vcc, 1, v2
	s_add_u32 s7, s7, s2
	v_addc_co_u32_e32 v7, vcc, 0, v3, vcc
	v_or_b32_e32 v2, 0x100, v0
	v_mov_b32_e32 v3, v1
	s_addc_u32 s2, s33, s3
	v_and_b32_e32 v8, -2, v6
	v_mov_b32_e32 v9, v7
	v_pk_mov_b32 v[4:5], v[2:3], v[2:3] op_sel:[0,1]
	s_mov_b32 s33, s16
	s_mov_b32 s36, s17
	s_mov_b64 s[34:35], 0
	v_mov_b32_e32 v12, s2
	s_movk_i32 s37, 0x200
	v_pk_mov_b32 v[10:11], v[8:9], v[8:9] op_sel:[0,1]
	v_pk_mov_b32 v[2:3], v[0:1], v[0:1] op_sel:[0,1]
.LBB27_5:                               ; =>This Inner Loop Header: Depth=1
	v_mul_lo_u32 v19, v3, s16
	v_mul_lo_u32 v20, v2, s17
	v_mad_u64_u32 v[16:17], s[2:3], v2, s16, 0
	v_add3_u32 v17, v17, v20, v19
	v_mul_lo_u32 v13, v5, s33
	v_mul_lo_u32 v18, v4, s36
	v_mad_u64_u32 v[14:15], s[2:3], v4, s33, 0
	v_lshlrev_b64 v[16:17], 2, v[16:17]
	v_add3_u32 v15, v15, v18, v13
	v_add_co_u32_e32 v16, vcc, s7, v16
	v_lshlrev_b64 v[14:15], 2, v[14:15]
	v_addc_co_u32_e32 v17, vcc, v12, v17, vcc
	v_add_co_u32_e32 v14, vcc, s7, v14
	v_addc_co_u32_e32 v15, vcc, v12, v15, vcc
	global_load_dword v13, v[16:17], off
	global_load_dword v18, v[14:15], off
	v_lshlrev_b32_e32 v15, 2, v4
	v_add_co_u32_e32 v4, vcc, s37, v4
	v_add_co_u32_e64 v10, s[2:3], -2, v10
	v_addc_co_u32_e64 v11, s[2:3], -1, v11, s[2:3]
	v_addc_co_u32_e32 v5, vcc, 0, v5, vcc
	v_lshlrev_b32_e32 v14, 2, v2
	v_add_co_u32_e32 v2, vcc, 0x200, v2
	v_cmp_eq_u64_e64 s[2:3], 0, v[10:11]
	v_addc_co_u32_e32 v3, vcc, 0, v3, vcc
	s_or_b64 s[34:35], s[2:3], s[34:35]
	s_waitcnt vmcnt(1)
	ds_write_b32 v14, v13
	s_waitcnt vmcnt(0)
	ds_write_b32 v15, v18
	s_andn2_b64 exec, exec, s[34:35]
	s_cbranch_execnz .LBB27_5
; %bb.6:
	s_or_b64 exec, exec, s[34:35]
	v_lshlrev_b64 v[2:3], 8, v[8:9]
	v_cmp_ne_u64_e32 vcc, v[6:7], v[8:9]
	v_or_b32_e32 v3, 0, v3
	v_or_b32_e32 v2, v2, v0
	s_orn2_b64 s[2:3], vcc, exec
.LBB27_7:
	s_or_b64 exec, exec, s[30:31]
	s_and_b64 exec, exec, s[2:3]
	s_cbranch_execz .LBB27_10
; %bb.8:
	v_mad_u64_u32 v[4:5], s[2:3], v2, s16, 0
	s_lshl_b64 s[2:3], s[18:19], 2
	s_lshl_b64 s[18:19], s[28:29], 2
	;; [unrolled: 1-line block ×3, first 2 shown]
	s_add_u32 s7, s12, s14
	s_addc_u32 s12, s13, s15
	s_add_u32 s7, s7, s18
	v_mul_lo_u32 v6, v3, s16
	v_mul_lo_u32 v7, v2, s17
	s_addc_u32 s12, s12, s19
	v_add3_u32 v5, v5, v7, v6
	s_add_u32 s2, s7, s2
	v_lshlrev_b64 v[4:5], 2, v[4:5]
	s_addc_u32 s3, s12, s3
	v_mov_b32_e32 v6, s3
	v_add_co_u32_e32 v4, vcc, s2, v4
	s_lshl_b64 s[12:13], s[16:17], 10
	v_addc_co_u32_e32 v5, vcc, v6, v5, vcc
	v_lshlrev_b32_e32 v6, 2, v2
	s_mov_b64 s[14:15], 0
	v_mov_b32_e32 v7, s13
.LBB27_9:                               ; =>This Inner Loop Header: Depth=1
	global_load_dword v8, v[4:5], off
	v_add_co_u32_e32 v2, vcc, 0x100, v2
	v_addc_co_u32_e32 v3, vcc, 0, v3, vcc
	v_add_co_u32_e64 v4, s[2:3], s12, v4
	v_cmp_le_i64_e32 vcc, s[10:11], v[2:3]
	v_addc_co_u32_e64 v5, s[2:3], v5, v7, s[2:3]
	s_or_b64 s[14:15], vcc, s[14:15]
	s_waitcnt vmcnt(0)
	ds_write_b32 v6, v8
	v_add_u32_e32 v6, 0x400, v6
	s_andn2_b64 exec, exec, s[14:15]
	s_cbranch_execnz .LBB27_9
.LBB27_10:
	s_or_b64 exec, exec, s[26:27]
	v_pk_mov_b32 v[2:3], s[8:9], s[8:9] op_sel:[0,1]
	v_cmp_ge_i64_e32 vcc, s[24:25], v[2:3]
	s_waitcnt lgkmcnt(0)
	s_barrier
	s_cbranch_vccnz .LBB27_30
; %bb.11:
	s_load_dwordx8 s[12:19], s[4:5], 0x40
	s_mul_i32 s4, s6, s23
	v_and_b32_e32 v2, 63, v0
	v_mbcnt_lo_u32_b32 v6, -1, 0
	v_mbcnt_hi_u32_b32 v15, -1, v6
	s_waitcnt lgkmcnt(0)
	s_mul_i32 s3, s6, s19
	s_mul_hi_u32 s5, s6, s18
	s_mul_i32 s2, s6, s18
	s_add_i32 s3, s5, s3
	s_lshl_b64 s[28:29], s[2:3], 2
	s_add_u32 s2, s12, s28
	s_addc_u32 s3, s13, s29
	s_lshl_b64 s[30:31], s[14:15], 2
	s_add_u32 s23, s2, s30
	s_mul_hi_u32 s2, s6, s22
	s_addc_u32 s26, s3, s31
	s_add_i32 s3, s2, s4
	s_mul_i32 s2, s6, s22
	s_lshl_b64 s[2:3], s[2:3], 2
	s_add_u32 s14, s20, s2
	s_addc_u32 s15, s21, s3
	v_cmp_eq_u32_e64 s[4:5], 0, v2
	v_mad_u64_u32 v[2:3], s[20:21], s16, v0, 0
	v_mov_b32_e32 v4, v3
	s_cmp_gt_i32 s10, 1
	v_mad_u64_u32 v[4:5], s[20:21], s17, v0, v[4:5]
	s_cselect_b64 s[18:19], -1, 0
	s_lshl_b32 s22, s16, 8
	s_lshl_b64 s[20:21], s[24:25], 2
	s_add_u32 s12, s12, s20
	s_addc_u32 s13, s13, s21
	s_add_u32 s12, s12, s30
	s_addc_u32 s13, s13, s31
	v_mov_b32_e32 v3, v4
	s_add_u32 s12, s12, s28
	v_lshlrev_b64 v[2:3], 2, v[2:3]
	s_addc_u32 s13, s13, s29
	v_mov_b32_e32 v4, s13
	v_add_co_u32_e32 v2, vcc, s12, v2
	v_cmp_gt_i32_e64 s[2:3], s10, v0
	v_lshrrev_b32_e32 v10, 4, v0
	v_cmp_eq_u32_e64 s[6:7], 0, v0
	v_lshlrev_b32_e32 v11, 2, v0
	v_mul_lo_u32 v12, v0, s16
	v_addc_co_u32_e32 v3, vcc, v4, v3, vcc
	s_lshl_b64 s[12:13], s[16:17], 10
	v_mov_b32_e32 v13, 0x2004
	v_mov_b32_e32 v14, 0
	v_pk_mov_b32 v[4:5], s[8:9], s[8:9] op_sel:[0,1]
	v_and_b32_e32 v16, 63, v15
	s_branch .LBB27_13
.LBB27_12:                              ;   in Loop: Header=BB27_13 Depth=1
	s_or_b64 exec, exec, s[8:9]
	s_add_u32 s24, s24, 64
	v_add_co_u32_e32 v2, vcc, 0x100, v2
	s_addc_u32 s25, s25, 0
	v_addc_co_u32_e32 v3, vcc, 0, v3, vcc
	v_cmp_ge_i64_e32 vcc, s[24:25], v[4:5]
	s_cbranch_vccnz .LBB27_30
.LBB27_13:                              ; =>This Loop Header: Depth=1
                                        ;     Child Loop BB27_15 Depth 2
                                        ;     Child Loop BB27_29 Depth 2
	v_mov_b32_e32 v8, 0
	s_and_saveexec_b64 s[8:9], s[2:3]
	s_cbranch_execz .LBB27_17
; %bb.14:                               ;   in Loop: Header=BB27_13 Depth=1
	s_lshl_b64 s[16:17], s[24:25], 2
	s_add_u32 s20, s23, s16
	s_addc_u32 s21, s26, s17
	s_mov_b64 s[16:17], 0
	v_mov_b32_e32 v8, 0
	v_mov_b32_e32 v9, s21
	;; [unrolled: 1-line block ×5, first 2 shown]
.LBB27_15:                              ;   Parent Loop BB27_13 Depth=1
                                        ; =>  This Inner Loop Header: Depth=2
	v_ashrrev_i32_e32 v7, 31, v6
	v_lshlrev_b64 v[20:21], 2, v[6:7]
	v_add_co_u32_e32 v20, vcc, s20, v20
	v_addc_co_u32_e32 v21, vcc, v9, v21, vcc
	global_load_dword v7, v[20:21], off
	ds_read_b32 v19, v17
	v_add_u32_e32 v18, 0x100, v18
	v_cmp_le_i32_e32 vcc, s10, v18
	v_add_u32_e32 v17, 0x400, v17
	v_add_u32_e32 v6, s22, v6
	s_or_b64 s[16:17], vcc, s[16:17]
	s_waitcnt vmcnt(0) lgkmcnt(0)
	v_mul_f32_e32 v7, v19, v7
	v_add_f32_e32 v8, v8, v7
	s_andn2_b64 exec, exec, s[16:17]
	s_cbranch_execnz .LBB27_15
; %bb.16:                               ;   in Loop: Header=BB27_13 Depth=1
	s_or_b64 exec, exec, s[16:17]
.LBB27_17:                              ;   in Loop: Header=BB27_13 Depth=1
	s_or_b64 exec, exec, s[8:9]
	s_and_b64 vcc, exec, s[18:19]
	s_cbranch_vccz .LBB27_24
; %bb.18:                               ;   in Loop: Header=BB27_13 Depth=1
	v_cmp_ne_u32_e32 vcc, 63, v16
	v_addc_co_u32_e32 v6, vcc, 0, v15, vcc
	v_lshlrev_b32_e32 v6, 2, v6
	ds_bpermute_b32 v6, v6, v8
	v_cmp_gt_u32_e32 vcc, 62, v16
	v_cndmask_b32_e64 v7, 0, 1, vcc
	v_lshlrev_b32_e32 v7, 1, v7
	v_add_lshl_u32 v7, v7, v15, 2
	s_waitcnt lgkmcnt(0)
	v_add_f32_e32 v6, v8, v6
	ds_bpermute_b32 v7, v7, v6
	v_cmp_gt_u32_e32 vcc, 60, v16
	v_cndmask_b32_e64 v9, 0, 1, vcc
	v_cmp_gt_u32_e32 vcc, 56, v16
	s_waitcnt lgkmcnt(0)
	v_add_f32_e32 v6, v6, v7
	v_lshlrev_b32_e32 v7, 2, v9
	v_add_lshl_u32 v7, v7, v15, 2
	ds_bpermute_b32 v7, v7, v6
	v_cndmask_b32_e64 v9, 0, 1, vcc
	v_cmp_gt_u32_e32 vcc, 48, v16
	s_waitcnt lgkmcnt(0)
	v_add_f32_e32 v6, v6, v7
	v_lshlrev_b32_e32 v7, 3, v9
	v_add_lshl_u32 v7, v7, v15, 2
	ds_bpermute_b32 v7, v7, v6
	;; [unrolled: 7-line block ×3, first 2 shown]
	v_cndmask_b32_e64 v9, 0, 1, vcc
	s_waitcnt lgkmcnt(0)
	v_add_f32_e32 v6, v6, v7
	v_lshlrev_b32_e32 v7, 5, v9
	v_add_lshl_u32 v7, v7, v15, 2
	ds_bpermute_b32 v7, v7, v6
	s_waitcnt lgkmcnt(0)
	v_add_f32_e32 v7, v6, v7
	s_and_saveexec_b64 s[8:9], s[4:5]
	s_cbranch_execz .LBB27_20
; %bb.19:                               ;   in Loop: Header=BB27_13 Depth=1
	ds_write_b32 v10, v7 offset:8192
.LBB27_20:                              ;   in Loop: Header=BB27_13 Depth=1
	s_or_b64 exec, exec, s[8:9]
	s_mov_b64 s[16:17], 0
	s_mov_b64 s[8:9], 0
	s_waitcnt lgkmcnt(0)
	s_barrier
	s_waitcnt lgkmcnt(0)
                                        ; implicit-def: $vgpr6
	s_and_saveexec_b64 s[20:21], s[6:7]
	s_xor_b64 s[20:21], exec, s[20:21]
	s_cbranch_execz .LBB27_22
; %bb.21:                               ;   in Loop: Header=BB27_13 Depth=1
	ds_read2_b32 v[18:19], v13 offset1:1
	ds_read_b32 v6, v14 offset:8204
	s_mov_b64 s[8:9], exec
	s_waitcnt lgkmcnt(1)
	v_add_f32_e32 v7, v7, v18
	v_add_f32_e32 v7, v7, v19
	s_waitcnt lgkmcnt(0)
	v_add_f32_e32 v6, v7, v6
.LBB27_22:                              ;   in Loop: Header=BB27_13 Depth=1
	s_or_b64 exec, exec, s[20:21]
	s_and_b64 vcc, exec, s[16:17]
	s_cbranch_vccnz .LBB27_25
.LBB27_23:                              ;   in Loop: Header=BB27_13 Depth=1
	v_mov_b32_e32 v8, v6
	s_and_saveexec_b64 s[16:17], s[8:9]
	s_cbranch_execnz .LBB27_26
	s_branch .LBB27_27
.LBB27_24:                              ;   in Loop: Header=BB27_13 Depth=1
	s_mov_b64 s[8:9], 0
                                        ; implicit-def: $vgpr6
	s_cbranch_execz .LBB27_23
.LBB27_25:                              ;   in Loop: Header=BB27_13 Depth=1
	s_andn2_b64 s[8:9], s[8:9], exec
	s_and_b64 s[16:17], s[6:7], exec
	s_or_b64 s[8:9], s[8:9], s[16:17]
	s_and_saveexec_b64 s[16:17], s[8:9]
	s_cbranch_execz .LBB27_27
.LBB27_26:                              ;   in Loop: Header=BB27_13 Depth=1
	ds_write_b32 v14, v8 offset:8192
.LBB27_27:                              ;   in Loop: Header=BB27_13 Depth=1
	s_or_b64 exec, exec, s[16:17]
	s_waitcnt lgkmcnt(0)
	s_barrier
	s_and_saveexec_b64 s[8:9], s[0:1]
	s_cbranch_execz .LBB27_12
; %bb.28:                               ;   in Loop: Header=BB27_13 Depth=1
	global_load_dword v8, v14, s[14:15]
	ds_read_b32 v9, v14 offset:8192
	s_mov_b64 s[16:17], 0
	v_mov_b32_e32 v17, v11
	v_pk_mov_b32 v[6:7], v[2:3], v[2:3] op_sel:[0,1]
	s_waitcnt vmcnt(0) lgkmcnt(0)
	v_mul_f32_e64 v18, v9, -v8
	v_pk_mov_b32 v[8:9], v[0:1], v[0:1] op_sel:[0,1]
.LBB27_29:                              ;   Parent Loop BB27_13 Depth=1
                                        ; =>  This Inner Loop Header: Depth=2
	global_load_dword v19, v[6:7], off
	ds_read_b32 v20, v17
	v_add_co_u32_e32 v8, vcc, 0x100, v8
	v_addc_co_u32_e32 v9, vcc, 0, v9, vcc
	v_cmp_le_i64_e32 vcc, s[10:11], v[8:9]
	v_mov_b32_e32 v21, s13
	s_or_b64 s[16:17], vcc, s[16:17]
	v_add_u32_e32 v17, 0x400, v17
	s_waitcnt vmcnt(0) lgkmcnt(0)
	v_fmac_f32_e32 v19, v18, v20
	global_store_dword v[6:7], v19, off
	v_add_co_u32_e32 v6, vcc, s12, v6
	v_addc_co_u32_e32 v7, vcc, v7, v21, vcc
	s_andn2_b64 exec, exec, s[16:17]
	s_cbranch_execnz .LBB27_29
	s_branch .LBB27_12
.LBB27_30:
	s_endpgm
	.section	.rodata,"a",@progbits
	.p2align	6, 0x0
	.amdhsa_kernel _ZN9rocsolver6v33100L23larf_right_kernel_smallILi256EflPfEEvT1_S3_T2_lS3_lPKT0_lS4_lS3_l
		.amdhsa_group_segment_fixed_size 8208
		.amdhsa_private_segment_fixed_size 0
		.amdhsa_kernarg_size 96
		.amdhsa_user_sgpr_count 6
		.amdhsa_user_sgpr_private_segment_buffer 1
		.amdhsa_user_sgpr_dispatch_ptr 0
		.amdhsa_user_sgpr_queue_ptr 0
		.amdhsa_user_sgpr_kernarg_segment_ptr 1
		.amdhsa_user_sgpr_dispatch_id 0
		.amdhsa_user_sgpr_flat_scratch_init 0
		.amdhsa_user_sgpr_kernarg_preload_length 0
		.amdhsa_user_sgpr_kernarg_preload_offset 0
		.amdhsa_user_sgpr_private_segment_size 0
		.amdhsa_uses_dynamic_stack 0
		.amdhsa_system_sgpr_private_segment_wavefront_offset 0
		.amdhsa_system_sgpr_workgroup_id_x 1
		.amdhsa_system_sgpr_workgroup_id_y 1
		.amdhsa_system_sgpr_workgroup_id_z 0
		.amdhsa_system_sgpr_workgroup_info 0
		.amdhsa_system_vgpr_workitem_id 0
		.amdhsa_next_free_vgpr 22
		.amdhsa_next_free_sgpr 38
		.amdhsa_accum_offset 24
		.amdhsa_reserve_vcc 1
		.amdhsa_reserve_flat_scratch 0
		.amdhsa_float_round_mode_32 0
		.amdhsa_float_round_mode_16_64 0
		.amdhsa_float_denorm_mode_32 3
		.amdhsa_float_denorm_mode_16_64 3
		.amdhsa_dx10_clamp 1
		.amdhsa_ieee_mode 1
		.amdhsa_fp16_overflow 0
		.amdhsa_tg_split 0
		.amdhsa_exception_fp_ieee_invalid_op 0
		.amdhsa_exception_fp_denorm_src 0
		.amdhsa_exception_fp_ieee_div_zero 0
		.amdhsa_exception_fp_ieee_overflow 0
		.amdhsa_exception_fp_ieee_underflow 0
		.amdhsa_exception_fp_ieee_inexact 0
		.amdhsa_exception_int_div_zero 0
	.end_amdhsa_kernel
	.section	.text._ZN9rocsolver6v33100L23larf_right_kernel_smallILi256EflPfEEvT1_S3_T2_lS3_lPKT0_lS4_lS3_l,"axG",@progbits,_ZN9rocsolver6v33100L23larf_right_kernel_smallILi256EflPfEEvT1_S3_T2_lS3_lPKT0_lS4_lS3_l,comdat
.Lfunc_end27:
	.size	_ZN9rocsolver6v33100L23larf_right_kernel_smallILi256EflPfEEvT1_S3_T2_lS3_lPKT0_lS4_lS3_l, .Lfunc_end27-_ZN9rocsolver6v33100L23larf_right_kernel_smallILi256EflPfEEvT1_S3_T2_lS3_lPKT0_lS4_lS3_l
                                        ; -- End function
	.section	.AMDGPU.csdata,"",@progbits
; Kernel info:
; codeLenInByte = 1700
; NumSgprs: 42
; NumVgprs: 22
; NumAgprs: 0
; TotalNumVgprs: 22
; ScratchSize: 0
; MemoryBound: 0
; FloatMode: 240
; IeeeMode: 1
; LDSByteSize: 8208 bytes/workgroup (compile time only)
; SGPRBlocks: 5
; VGPRBlocks: 2
; NumSGPRsForWavesPerEU: 42
; NumVGPRsForWavesPerEU: 22
; AccumOffset: 24
; Occupancy: 7
; WaveLimiterHint : 0
; COMPUTE_PGM_RSRC2:SCRATCH_EN: 0
; COMPUTE_PGM_RSRC2:USER_SGPR: 6
; COMPUTE_PGM_RSRC2:TRAP_HANDLER: 0
; COMPUTE_PGM_RSRC2:TGID_X_EN: 1
; COMPUTE_PGM_RSRC2:TGID_Y_EN: 1
; COMPUTE_PGM_RSRC2:TGID_Z_EN: 0
; COMPUTE_PGM_RSRC2:TIDIG_COMP_CNT: 0
; COMPUTE_PGM_RSRC3_GFX90A:ACCUM_OFFSET: 5
; COMPUTE_PGM_RSRC3_GFX90A:TG_SPLIT: 0
	.section	.text._ZN9rocsolver6v33100L23larf_right_kernel_smallILi512EflPfEEvT1_S3_T2_lS3_lPKT0_lS4_lS3_l,"axG",@progbits,_ZN9rocsolver6v33100L23larf_right_kernel_smallILi512EflPfEEvT1_S3_T2_lS3_lPKT0_lS4_lS3_l,comdat
	.globl	_ZN9rocsolver6v33100L23larf_right_kernel_smallILi512EflPfEEvT1_S3_T2_lS3_lPKT0_lS4_lS3_l ; -- Begin function _ZN9rocsolver6v33100L23larf_right_kernel_smallILi512EflPfEEvT1_S3_T2_lS3_lPKT0_lS4_lS3_l
	.p2align	8
	.type	_ZN9rocsolver6v33100L23larf_right_kernel_smallILi512EflPfEEvT1_S3_T2_lS3_lPKT0_lS4_lS3_l,@function
_ZN9rocsolver6v33100L23larf_right_kernel_smallILi512EflPfEEvT1_S3_T2_lS3_lPKT0_lS4_lS3_l: ; @_ZN9rocsolver6v33100L23larf_right_kernel_smallILi512EflPfEEvT1_S3_T2_lS3_lPKT0_lS4_lS3_l
; %bb.0:
	s_load_dwordx16 s[8:23], s[4:5], 0x0
	s_mov_b32 s24, s7
	s_mov_b64 s[28:29], 0
	s_waitcnt lgkmcnt(0)
	v_cmp_gt_i64_e64 s[0:1], s[16:17], 0
	s_and_b64 vcc, exec, s[0:1]
	s_cbranch_vccnz .LBB28_2
; %bb.1:
	s_sub_u32 s0, 1, s10
	s_subb_u32 s1, 0, s11
	s_mul_i32 s2, s0, s17
	s_mul_hi_u32 s3, s0, s16
	s_add_i32 s2, s3, s2
	s_mul_i32 s1, s1, s16
	s_add_i32 s29, s2, s1
	s_mul_i32 s28, s0, s16
.LBB28_2:
	v_mov_b32_e32 v1, 0
	s_mov_b32 s25, 0
	v_cmp_gt_i64_e64 s[0:1], s[10:11], v[0:1]
	s_and_saveexec_b64 s[26:27], s[0:1]
	s_cbranch_execz .LBB28_10
; %bb.3:
	v_not_b32_e32 v3, v0
	s_mul_i32 s2, s6, s19
	s_mul_hi_u32 s3, s6, s18
	v_not_b32_e32 v2, 0
	v_mov_b32_e32 v5, s11
	v_add_co_u32_e32 v4, vcc, s10, v3
	s_add_i32 s19, s3, s2
	v_addc_co_u32_e32 v5, vcc, v2, v5, vcc
	s_mov_b64 s[2:3], 0x1ff
	s_mul_i32 s18, s6, s18
	v_cmp_lt_u64_e32 vcc, s[2:3], v[4:5]
	s_mov_b64 s[2:3], -1
	v_pk_mov_b32 v[2:3], v[0:1], v[0:1] op_sel:[0,1]
	s_and_saveexec_b64 s[30:31], vcc
	s_cbranch_execz .LBB28_7
; %bb.4:
	s_lshl_b64 s[2:3], s[18:19], 2
	s_add_u32 s7, s12, s2
	s_addc_u32 s33, s13, s3
	s_lshl_b64 s[2:3], s[14:15], 2
	s_add_u32 s7, s7, s2
	v_lshrrev_b64 v[2:3], 9, v[4:5]
	s_addc_u32 s33, s33, s3
	s_lshl_b64 s[2:3], s[28:29], 2
	v_add_co_u32_e32 v6, vcc, 1, v2
	s_add_u32 s7, s7, s2
	v_addc_co_u32_e32 v7, vcc, 0, v3, vcc
	v_or_b32_e32 v2, 0x200, v0
	v_mov_b32_e32 v3, v1
	s_addc_u32 s2, s33, s3
	v_and_b32_e32 v8, -2, v6
	v_mov_b32_e32 v9, v7
	v_pk_mov_b32 v[4:5], v[2:3], v[2:3] op_sel:[0,1]
	s_mov_b32 s33, s16
	s_mov_b32 s36, s17
	s_mov_b64 s[34:35], 0
	v_mov_b32_e32 v12, s2
	s_movk_i32 s37, 0x400
	v_pk_mov_b32 v[10:11], v[8:9], v[8:9] op_sel:[0,1]
	v_pk_mov_b32 v[2:3], v[0:1], v[0:1] op_sel:[0,1]
.LBB28_5:                               ; =>This Inner Loop Header: Depth=1
	v_mul_lo_u32 v19, v3, s16
	v_mul_lo_u32 v20, v2, s17
	v_mad_u64_u32 v[16:17], s[2:3], v2, s16, 0
	v_add3_u32 v17, v17, v20, v19
	v_mul_lo_u32 v13, v5, s33
	v_mul_lo_u32 v18, v4, s36
	v_mad_u64_u32 v[14:15], s[2:3], v4, s33, 0
	v_lshlrev_b64 v[16:17], 2, v[16:17]
	v_add3_u32 v15, v15, v18, v13
	v_add_co_u32_e32 v16, vcc, s7, v16
	v_lshlrev_b64 v[14:15], 2, v[14:15]
	v_addc_co_u32_e32 v17, vcc, v12, v17, vcc
	v_add_co_u32_e32 v14, vcc, s7, v14
	v_addc_co_u32_e32 v15, vcc, v12, v15, vcc
	global_load_dword v13, v[16:17], off
	global_load_dword v18, v[14:15], off
	v_lshlrev_b32_e32 v15, 2, v4
	v_add_co_u32_e32 v4, vcc, s37, v4
	v_add_co_u32_e64 v10, s[2:3], -2, v10
	v_addc_co_u32_e64 v11, s[2:3], -1, v11, s[2:3]
	v_addc_co_u32_e32 v5, vcc, 0, v5, vcc
	v_lshlrev_b32_e32 v14, 2, v2
	v_add_co_u32_e32 v2, vcc, 0x400, v2
	v_cmp_eq_u64_e64 s[2:3], 0, v[10:11]
	v_addc_co_u32_e32 v3, vcc, 0, v3, vcc
	s_or_b64 s[34:35], s[2:3], s[34:35]
	s_waitcnt vmcnt(1)
	ds_write_b32 v14, v13
	s_waitcnt vmcnt(0)
	ds_write_b32 v15, v18
	s_andn2_b64 exec, exec, s[34:35]
	s_cbranch_execnz .LBB28_5
; %bb.6:
	s_or_b64 exec, exec, s[34:35]
	v_lshlrev_b64 v[2:3], 9, v[8:9]
	v_cmp_ne_u64_e32 vcc, v[6:7], v[8:9]
	v_or_b32_e32 v3, 0, v3
	v_or_b32_e32 v2, v2, v0
	s_orn2_b64 s[2:3], vcc, exec
.LBB28_7:
	s_or_b64 exec, exec, s[30:31]
	s_and_b64 exec, exec, s[2:3]
	s_cbranch_execz .LBB28_10
; %bb.8:
	v_mad_u64_u32 v[4:5], s[2:3], v2, s16, 0
	s_lshl_b64 s[2:3], s[18:19], 2
	s_lshl_b64 s[18:19], s[28:29], 2
	;; [unrolled: 1-line block ×3, first 2 shown]
	s_add_u32 s7, s12, s14
	s_addc_u32 s12, s13, s15
	s_add_u32 s7, s7, s18
	v_mul_lo_u32 v6, v3, s16
	v_mul_lo_u32 v7, v2, s17
	s_addc_u32 s12, s12, s19
	v_add3_u32 v5, v5, v7, v6
	s_add_u32 s2, s7, s2
	v_lshlrev_b64 v[4:5], 2, v[4:5]
	s_addc_u32 s3, s12, s3
	v_mov_b32_e32 v6, s3
	v_add_co_u32_e32 v4, vcc, s2, v4
	s_lshl_b64 s[12:13], s[16:17], 11
	v_addc_co_u32_e32 v5, vcc, v6, v5, vcc
	v_lshlrev_b32_e32 v6, 2, v2
	s_mov_b64 s[14:15], 0
	v_mov_b32_e32 v7, s13
.LBB28_9:                               ; =>This Inner Loop Header: Depth=1
	global_load_dword v8, v[4:5], off
	v_add_co_u32_e32 v2, vcc, 0x200, v2
	v_addc_co_u32_e32 v3, vcc, 0, v3, vcc
	v_add_co_u32_e64 v4, s[2:3], s12, v4
	v_cmp_le_i64_e32 vcc, s[10:11], v[2:3]
	v_addc_co_u32_e64 v5, s[2:3], v5, v7, s[2:3]
	s_or_b64 s[14:15], vcc, s[14:15]
	s_waitcnt vmcnt(0)
	ds_write_b32 v6, v8
	v_add_u32_e32 v6, 0x800, v6
	s_andn2_b64 exec, exec, s[14:15]
	s_cbranch_execnz .LBB28_9
.LBB28_10:
	s_or_b64 exec, exec, s[26:27]
	v_pk_mov_b32 v[2:3], s[8:9], s[8:9] op_sel:[0,1]
	v_cmp_ge_i64_e32 vcc, s[24:25], v[2:3]
	s_waitcnt lgkmcnt(0)
	s_barrier
	s_cbranch_vccnz .LBB28_30
; %bb.11:
	s_load_dwordx8 s[12:19], s[4:5], 0x40
	s_mul_i32 s4, s6, s23
	v_and_b32_e32 v2, 63, v0
	v_lshrrev_b32_e32 v10, 4, v0
	v_lshlrev_b32_e32 v11, 2, v0
	s_waitcnt lgkmcnt(0)
	s_mul_i32 s3, s6, s19
	s_mul_hi_u32 s5, s6, s18
	s_mul_i32 s2, s6, s18
	s_add_i32 s3, s5, s3
	s_lshl_b64 s[28:29], s[2:3], 2
	s_add_u32 s2, s12, s28
	s_addc_u32 s3, s13, s29
	s_lshl_b64 s[30:31], s[14:15], 2
	s_add_u32 s23, s2, s30
	s_mul_hi_u32 s2, s6, s22
	s_addc_u32 s26, s3, s31
	s_add_i32 s3, s2, s4
	s_mul_i32 s2, s6, s22
	s_lshl_b64 s[2:3], s[2:3], 2
	s_add_u32 s14, s20, s2
	s_addc_u32 s15, s21, s3
	v_cmp_eq_u32_e64 s[4:5], 0, v2
	v_mad_u64_u32 v[2:3], s[20:21], s16, v0, 0
	v_mov_b32_e32 v4, v3
	s_cmp_gt_i32 s10, 1
	v_mad_u64_u32 v[4:5], s[20:21], s17, v0, v[4:5]
	s_cselect_b64 s[18:19], -1, 0
	s_lshl_b32 s22, s16, 9
	s_lshl_b64 s[20:21], s[24:25], 2
	s_add_u32 s12, s12, s20
	s_addc_u32 s13, s13, s21
	s_add_u32 s12, s12, s30
	s_addc_u32 s13, s13, s31
	v_mov_b32_e32 v3, v4
	s_add_u32 s12, s12, s28
	v_lshlrev_b64 v[2:3], 2, v[2:3]
	s_addc_u32 s13, s13, s29
	v_mov_b32_e32 v4, s13
	v_add_co_u32_e32 v2, vcc, s12, v2
	v_addc_co_u32_e32 v3, vcc, v4, v3, vcc
	v_mbcnt_lo_u32_b32 v4, -1, 0
	v_mbcnt_hi_u32_b32 v17, -1, v4
	v_cmp_gt_i32_e64 s[2:3], s10, v0
	v_cmp_eq_u32_e64 s[6:7], 0, v0
	v_mul_lo_u32 v12, v0, s16
	s_lshl_b64 s[12:13], s[16:17], 11
	v_mov_b32_e32 v13, 0x2004
	v_mov_b32_e32 v14, 0x200c
	;; [unrolled: 1-line block ×4, first 2 shown]
	v_and_b32_e32 v18, 63, v17
	v_pk_mov_b32 v[4:5], s[8:9], s[8:9] op_sel:[0,1]
	s_branch .LBB28_13
.LBB28_12:                              ;   in Loop: Header=BB28_13 Depth=1
	s_or_b64 exec, exec, s[8:9]
	s_add_u32 s24, s24, 64
	v_add_co_u32_e32 v2, vcc, 0x100, v2
	s_addc_u32 s25, s25, 0
	v_addc_co_u32_e32 v3, vcc, 0, v3, vcc
	v_cmp_ge_i64_e32 vcc, s[24:25], v[4:5]
	s_cbranch_vccnz .LBB28_30
.LBB28_13:                              ; =>This Loop Header: Depth=1
                                        ;     Child Loop BB28_15 Depth 2
                                        ;     Child Loop BB28_29 Depth 2
	v_mov_b32_e32 v8, 0
	s_and_saveexec_b64 s[8:9], s[2:3]
	s_cbranch_execz .LBB28_17
; %bb.14:                               ;   in Loop: Header=BB28_13 Depth=1
	s_lshl_b64 s[16:17], s[24:25], 2
	s_add_u32 s20, s23, s16
	s_addc_u32 s21, s26, s17
	s_mov_b64 s[16:17], 0
	v_mov_b32_e32 v8, 0
	v_mov_b32_e32 v9, s21
	;; [unrolled: 1-line block ×5, first 2 shown]
.LBB28_15:                              ;   Parent Loop BB28_13 Depth=1
                                        ; =>  This Inner Loop Header: Depth=2
	v_ashrrev_i32_e32 v7, 31, v6
	v_lshlrev_b64 v[22:23], 2, v[6:7]
	v_add_co_u32_e32 v22, vcc, s20, v22
	v_addc_co_u32_e32 v23, vcc, v9, v23, vcc
	global_load_dword v7, v[22:23], off
	ds_read_b32 v21, v19
	v_add_u32_e32 v20, 0x200, v20
	v_cmp_le_i32_e32 vcc, s10, v20
	v_add_u32_e32 v19, 0x800, v19
	v_add_u32_e32 v6, s22, v6
	s_or_b64 s[16:17], vcc, s[16:17]
	s_waitcnt vmcnt(0) lgkmcnt(0)
	v_mul_f32_e32 v7, v21, v7
	v_add_f32_e32 v8, v8, v7
	s_andn2_b64 exec, exec, s[16:17]
	s_cbranch_execnz .LBB28_15
; %bb.16:                               ;   in Loop: Header=BB28_13 Depth=1
	s_or_b64 exec, exec, s[16:17]
.LBB28_17:                              ;   in Loop: Header=BB28_13 Depth=1
	s_or_b64 exec, exec, s[8:9]
	s_and_b64 vcc, exec, s[18:19]
	s_cbranch_vccz .LBB28_24
; %bb.18:                               ;   in Loop: Header=BB28_13 Depth=1
	v_cmp_ne_u32_e32 vcc, 63, v18
	v_addc_co_u32_e32 v6, vcc, 0, v17, vcc
	v_lshlrev_b32_e32 v6, 2, v6
	ds_bpermute_b32 v6, v6, v8
	v_cmp_gt_u32_e32 vcc, 62, v18
	v_cndmask_b32_e64 v7, 0, 1, vcc
	v_lshlrev_b32_e32 v7, 1, v7
	v_add_lshl_u32 v7, v7, v17, 2
	s_waitcnt lgkmcnt(0)
	v_add_f32_e32 v6, v8, v6
	ds_bpermute_b32 v7, v7, v6
	v_cmp_gt_u32_e32 vcc, 60, v18
	v_cndmask_b32_e64 v9, 0, 1, vcc
	v_cmp_gt_u32_e32 vcc, 56, v18
	s_waitcnt lgkmcnt(0)
	v_add_f32_e32 v6, v6, v7
	v_lshlrev_b32_e32 v7, 2, v9
	v_add_lshl_u32 v7, v7, v17, 2
	ds_bpermute_b32 v7, v7, v6
	v_cndmask_b32_e64 v9, 0, 1, vcc
	v_cmp_gt_u32_e32 vcc, 48, v18
	s_waitcnt lgkmcnt(0)
	v_add_f32_e32 v6, v6, v7
	v_lshlrev_b32_e32 v7, 3, v9
	v_add_lshl_u32 v7, v7, v17, 2
	ds_bpermute_b32 v7, v7, v6
	;; [unrolled: 7-line block ×3, first 2 shown]
	v_cndmask_b32_e64 v9, 0, 1, vcc
	s_waitcnt lgkmcnt(0)
	v_add_f32_e32 v6, v6, v7
	v_lshlrev_b32_e32 v7, 5, v9
	v_add_lshl_u32 v7, v7, v17, 2
	ds_bpermute_b32 v7, v7, v6
	s_waitcnt lgkmcnt(0)
	v_add_f32_e32 v6, v6, v7
	s_and_saveexec_b64 s[8:9], s[4:5]
	s_cbranch_execz .LBB28_20
; %bb.19:                               ;   in Loop: Header=BB28_13 Depth=1
	ds_write_b32 v10, v6 offset:8192
.LBB28_20:                              ;   in Loop: Header=BB28_13 Depth=1
	s_or_b64 exec, exec, s[8:9]
	s_mov_b64 s[16:17], 0
	s_mov_b64 s[8:9], 0
	s_waitcnt lgkmcnt(0)
	s_barrier
	s_waitcnt lgkmcnt(0)
                                        ; implicit-def: $vgpr7
	s_and_saveexec_b64 s[20:21], s[6:7]
	s_xor_b64 s[20:21], exec, s[20:21]
	s_cbranch_execz .LBB28_22
; %bb.21:                               ;   in Loop: Header=BB28_13 Depth=1
	ds_read2_b32 v[20:21], v13 offset1:1
	ds_read2_b32 v[22:23], v14 offset1:1
	;; [unrolled: 1-line block ×3, first 2 shown]
	ds_read_b32 v7, v16 offset:8220
	s_mov_b64 s[8:9], exec
	s_waitcnt lgkmcnt(3)
	v_add_f32_e32 v6, v6, v20
	v_add_f32_e32 v6, v6, v21
	s_waitcnt lgkmcnt(2)
	v_add_f32_e32 v6, v6, v22
	v_add_f32_e32 v6, v6, v23
	;; [unrolled: 3-line block ×3, first 2 shown]
	s_waitcnt lgkmcnt(0)
	v_add_f32_e32 v7, v6, v7
.LBB28_22:                              ;   in Loop: Header=BB28_13 Depth=1
	s_or_b64 exec, exec, s[20:21]
	s_and_b64 vcc, exec, s[16:17]
	s_cbranch_vccnz .LBB28_25
.LBB28_23:                              ;   in Loop: Header=BB28_13 Depth=1
	v_mov_b32_e32 v8, v7
	s_and_saveexec_b64 s[16:17], s[8:9]
	s_cbranch_execnz .LBB28_26
	s_branch .LBB28_27
.LBB28_24:                              ;   in Loop: Header=BB28_13 Depth=1
	s_mov_b64 s[8:9], 0
                                        ; implicit-def: $vgpr7
	s_cbranch_execz .LBB28_23
.LBB28_25:                              ;   in Loop: Header=BB28_13 Depth=1
	s_andn2_b64 s[8:9], s[8:9], exec
	s_and_b64 s[16:17], s[6:7], exec
	s_or_b64 s[8:9], s[8:9], s[16:17]
	s_and_saveexec_b64 s[16:17], s[8:9]
	s_cbranch_execz .LBB28_27
.LBB28_26:                              ;   in Loop: Header=BB28_13 Depth=1
	ds_write_b32 v16, v8 offset:8192
.LBB28_27:                              ;   in Loop: Header=BB28_13 Depth=1
	s_or_b64 exec, exec, s[16:17]
	s_waitcnt lgkmcnt(0)
	s_barrier
	s_and_saveexec_b64 s[8:9], s[0:1]
	s_cbranch_execz .LBB28_12
; %bb.28:                               ;   in Loop: Header=BB28_13 Depth=1
	global_load_dword v8, v16, s[14:15]
	ds_read_b32 v9, v16 offset:8192
	s_mov_b64 s[16:17], 0
	v_mov_b32_e32 v19, v11
	v_pk_mov_b32 v[6:7], v[2:3], v[2:3] op_sel:[0,1]
	s_waitcnt vmcnt(0) lgkmcnt(0)
	v_mul_f32_e64 v20, v9, -v8
	v_pk_mov_b32 v[8:9], v[0:1], v[0:1] op_sel:[0,1]
.LBB28_29:                              ;   Parent Loop BB28_13 Depth=1
                                        ; =>  This Inner Loop Header: Depth=2
	global_load_dword v21, v[6:7], off
	ds_read_b32 v22, v19
	v_add_co_u32_e32 v8, vcc, 0x200, v8
	v_addc_co_u32_e32 v9, vcc, 0, v9, vcc
	v_cmp_le_i64_e32 vcc, s[10:11], v[8:9]
	v_mov_b32_e32 v23, s13
	s_or_b64 s[16:17], vcc, s[16:17]
	v_add_u32_e32 v19, 0x800, v19
	s_waitcnt vmcnt(0) lgkmcnt(0)
	v_fmac_f32_e32 v21, v20, v22
	global_store_dword v[6:7], v21, off
	v_add_co_u32_e32 v6, vcc, s12, v6
	v_addc_co_u32_e32 v7, vcc, v7, v23, vcc
	s_andn2_b64 exec, exec, s[16:17]
	s_cbranch_execnz .LBB28_29
	s_branch .LBB28_12
.LBB28_30:
	s_endpgm
	.section	.rodata,"a",@progbits
	.p2align	6, 0x0
	.amdhsa_kernel _ZN9rocsolver6v33100L23larf_right_kernel_smallILi512EflPfEEvT1_S3_T2_lS3_lPKT0_lS4_lS3_l
		.amdhsa_group_segment_fixed_size 8224
		.amdhsa_private_segment_fixed_size 0
		.amdhsa_kernarg_size 96
		.amdhsa_user_sgpr_count 6
		.amdhsa_user_sgpr_private_segment_buffer 1
		.amdhsa_user_sgpr_dispatch_ptr 0
		.amdhsa_user_sgpr_queue_ptr 0
		.amdhsa_user_sgpr_kernarg_segment_ptr 1
		.amdhsa_user_sgpr_dispatch_id 0
		.amdhsa_user_sgpr_flat_scratch_init 0
		.amdhsa_user_sgpr_kernarg_preload_length 0
		.amdhsa_user_sgpr_kernarg_preload_offset 0
		.amdhsa_user_sgpr_private_segment_size 0
		.amdhsa_uses_dynamic_stack 0
		.amdhsa_system_sgpr_private_segment_wavefront_offset 0
		.amdhsa_system_sgpr_workgroup_id_x 1
		.amdhsa_system_sgpr_workgroup_id_y 1
		.amdhsa_system_sgpr_workgroup_id_z 0
		.amdhsa_system_sgpr_workgroup_info 0
		.amdhsa_system_vgpr_workitem_id 0
		.amdhsa_next_free_vgpr 26
		.amdhsa_next_free_sgpr 38
		.amdhsa_accum_offset 28
		.amdhsa_reserve_vcc 1
		.amdhsa_reserve_flat_scratch 0
		.amdhsa_float_round_mode_32 0
		.amdhsa_float_round_mode_16_64 0
		.amdhsa_float_denorm_mode_32 3
		.amdhsa_float_denorm_mode_16_64 3
		.amdhsa_dx10_clamp 1
		.amdhsa_ieee_mode 1
		.amdhsa_fp16_overflow 0
		.amdhsa_tg_split 0
		.amdhsa_exception_fp_ieee_invalid_op 0
		.amdhsa_exception_fp_denorm_src 0
		.amdhsa_exception_fp_ieee_div_zero 0
		.amdhsa_exception_fp_ieee_overflow 0
		.amdhsa_exception_fp_ieee_underflow 0
		.amdhsa_exception_fp_ieee_inexact 0
		.amdhsa_exception_int_div_zero 0
	.end_amdhsa_kernel
	.section	.text._ZN9rocsolver6v33100L23larf_right_kernel_smallILi512EflPfEEvT1_S3_T2_lS3_lPKT0_lS4_lS3_l,"axG",@progbits,_ZN9rocsolver6v33100L23larf_right_kernel_smallILi512EflPfEEvT1_S3_T2_lS3_lPKT0_lS4_lS3_l,comdat
.Lfunc_end28:
	.size	_ZN9rocsolver6v33100L23larf_right_kernel_smallILi512EflPfEEvT1_S3_T2_lS3_lPKT0_lS4_lS3_l, .Lfunc_end28-_ZN9rocsolver6v33100L23larf_right_kernel_smallILi512EflPfEEvT1_S3_T2_lS3_lPKT0_lS4_lS3_l
                                        ; -- End function
	.section	.AMDGPU.csdata,"",@progbits
; Kernel info:
; codeLenInByte = 1756
; NumSgprs: 42
; NumVgprs: 26
; NumAgprs: 0
; TotalNumVgprs: 26
; ScratchSize: 0
; MemoryBound: 0
; FloatMode: 240
; IeeeMode: 1
; LDSByteSize: 8224 bytes/workgroup (compile time only)
; SGPRBlocks: 5
; VGPRBlocks: 3
; NumSGPRsForWavesPerEU: 42
; NumVGPRsForWavesPerEU: 26
; AccumOffset: 28
; Occupancy: 8
; WaveLimiterHint : 0
; COMPUTE_PGM_RSRC2:SCRATCH_EN: 0
; COMPUTE_PGM_RSRC2:USER_SGPR: 6
; COMPUTE_PGM_RSRC2:TRAP_HANDLER: 0
; COMPUTE_PGM_RSRC2:TGID_X_EN: 1
; COMPUTE_PGM_RSRC2:TGID_Y_EN: 1
; COMPUTE_PGM_RSRC2:TGID_Z_EN: 0
; COMPUTE_PGM_RSRC2:TIDIG_COMP_CNT: 0
; COMPUTE_PGM_RSRC3_GFX90A:ACCUM_OFFSET: 6
; COMPUTE_PGM_RSRC3_GFX90A:TG_SPLIT: 0
	.section	.text._ZN9rocsolver6v33100L23larf_right_kernel_smallILi1024EflPfEEvT1_S3_T2_lS3_lPKT0_lS4_lS3_l,"axG",@progbits,_ZN9rocsolver6v33100L23larf_right_kernel_smallILi1024EflPfEEvT1_S3_T2_lS3_lPKT0_lS4_lS3_l,comdat
	.globl	_ZN9rocsolver6v33100L23larf_right_kernel_smallILi1024EflPfEEvT1_S3_T2_lS3_lPKT0_lS4_lS3_l ; -- Begin function _ZN9rocsolver6v33100L23larf_right_kernel_smallILi1024EflPfEEvT1_S3_T2_lS3_lPKT0_lS4_lS3_l
	.p2align	8
	.type	_ZN9rocsolver6v33100L23larf_right_kernel_smallILi1024EflPfEEvT1_S3_T2_lS3_lPKT0_lS4_lS3_l,@function
_ZN9rocsolver6v33100L23larf_right_kernel_smallILi1024EflPfEEvT1_S3_T2_lS3_lPKT0_lS4_lS3_l: ; @_ZN9rocsolver6v33100L23larf_right_kernel_smallILi1024EflPfEEvT1_S3_T2_lS3_lPKT0_lS4_lS3_l
; %bb.0:
	s_load_dwordx16 s[8:23], s[4:5], 0x0
	s_mov_b32 s24, s7
	s_mov_b64 s[28:29], 0
	s_waitcnt lgkmcnt(0)
	v_cmp_gt_i64_e64 s[0:1], s[16:17], 0
	s_and_b64 vcc, exec, s[0:1]
	s_cbranch_vccnz .LBB29_2
; %bb.1:
	s_sub_u32 s0, 1, s10
	s_subb_u32 s1, 0, s11
	s_mul_i32 s2, s0, s17
	s_mul_hi_u32 s3, s0, s16
	s_add_i32 s2, s3, s2
	s_mul_i32 s1, s1, s16
	s_add_i32 s29, s2, s1
	s_mul_i32 s28, s0, s16
.LBB29_2:
	v_mov_b32_e32 v1, 0
	s_mov_b32 s25, 0
	v_cmp_gt_i64_e64 s[0:1], s[10:11], v[0:1]
	s_and_saveexec_b64 s[26:27], s[0:1]
	s_cbranch_execz .LBB29_10
; %bb.3:
	v_not_b32_e32 v3, v0
	s_mul_i32 s2, s6, s19
	s_mul_hi_u32 s3, s6, s18
	v_not_b32_e32 v2, 0
	v_mov_b32_e32 v5, s11
	v_add_co_u32_e32 v4, vcc, s10, v3
	s_add_i32 s19, s3, s2
	v_addc_co_u32_e32 v5, vcc, v2, v5, vcc
	s_mov_b64 s[2:3], 0x3ff
	s_mul_i32 s18, s6, s18
	v_cmp_lt_u64_e32 vcc, s[2:3], v[4:5]
	s_mov_b64 s[2:3], -1
	v_pk_mov_b32 v[2:3], v[0:1], v[0:1] op_sel:[0,1]
	s_and_saveexec_b64 s[30:31], vcc
	s_cbranch_execz .LBB29_7
; %bb.4:
	s_lshl_b64 s[2:3], s[18:19], 2
	s_add_u32 s7, s12, s2
	s_addc_u32 s33, s13, s3
	s_lshl_b64 s[2:3], s[14:15], 2
	s_add_u32 s7, s7, s2
	v_lshrrev_b64 v[2:3], 10, v[4:5]
	s_addc_u32 s33, s33, s3
	s_lshl_b64 s[2:3], s[28:29], 2
	v_add_co_u32_e32 v6, vcc, 1, v2
	s_add_u32 s7, s7, s2
	v_addc_co_u32_e32 v7, vcc, 0, v3, vcc
	v_or_b32_e32 v2, 0x400, v0
	v_mov_b32_e32 v3, v1
	s_addc_u32 s2, s33, s3
	v_and_b32_e32 v8, -2, v6
	v_mov_b32_e32 v9, v7
	v_pk_mov_b32 v[4:5], v[2:3], v[2:3] op_sel:[0,1]
	s_mov_b32 s33, s16
	s_mov_b32 s36, s17
	s_mov_b64 s[34:35], 0
	v_mov_b32_e32 v12, s2
	s_movk_i32 s37, 0x800
	v_pk_mov_b32 v[10:11], v[8:9], v[8:9] op_sel:[0,1]
	v_pk_mov_b32 v[2:3], v[0:1], v[0:1] op_sel:[0,1]
.LBB29_5:                               ; =>This Inner Loop Header: Depth=1
	v_mul_lo_u32 v19, v3, s16
	v_mul_lo_u32 v20, v2, s17
	v_mad_u64_u32 v[16:17], s[2:3], v2, s16, 0
	v_add3_u32 v17, v17, v20, v19
	v_mul_lo_u32 v13, v5, s33
	v_mul_lo_u32 v18, v4, s36
	v_mad_u64_u32 v[14:15], s[2:3], v4, s33, 0
	v_lshlrev_b64 v[16:17], 2, v[16:17]
	v_add3_u32 v15, v15, v18, v13
	v_add_co_u32_e32 v16, vcc, s7, v16
	v_lshlrev_b64 v[14:15], 2, v[14:15]
	v_addc_co_u32_e32 v17, vcc, v12, v17, vcc
	v_add_co_u32_e32 v14, vcc, s7, v14
	v_addc_co_u32_e32 v15, vcc, v12, v15, vcc
	global_load_dword v13, v[16:17], off
	global_load_dword v18, v[14:15], off
	v_lshlrev_b32_e32 v15, 2, v4
	v_add_co_u32_e32 v4, vcc, s37, v4
	v_add_co_u32_e64 v10, s[2:3], -2, v10
	v_addc_co_u32_e64 v11, s[2:3], -1, v11, s[2:3]
	v_addc_co_u32_e32 v5, vcc, 0, v5, vcc
	v_lshlrev_b32_e32 v14, 2, v2
	v_add_co_u32_e32 v2, vcc, 0x800, v2
	v_cmp_eq_u64_e64 s[2:3], 0, v[10:11]
	v_addc_co_u32_e32 v3, vcc, 0, v3, vcc
	s_or_b64 s[34:35], s[2:3], s[34:35]
	s_waitcnt vmcnt(1)
	ds_write_b32 v14, v13
	s_waitcnt vmcnt(0)
	ds_write_b32 v15, v18
	s_andn2_b64 exec, exec, s[34:35]
	s_cbranch_execnz .LBB29_5
; %bb.6:
	s_or_b64 exec, exec, s[34:35]
	v_lshlrev_b64 v[2:3], 10, v[8:9]
	v_cmp_ne_u64_e32 vcc, v[6:7], v[8:9]
	v_or_b32_e32 v3, 0, v3
	v_or_b32_e32 v2, v2, v0
	s_orn2_b64 s[2:3], vcc, exec
.LBB29_7:
	s_or_b64 exec, exec, s[30:31]
	s_and_b64 exec, exec, s[2:3]
	s_cbranch_execz .LBB29_10
; %bb.8:
	v_mad_u64_u32 v[4:5], s[2:3], v2, s16, 0
	s_lshl_b64 s[2:3], s[18:19], 2
	s_lshl_b64 s[18:19], s[28:29], 2
	;; [unrolled: 1-line block ×3, first 2 shown]
	s_add_u32 s7, s12, s14
	s_addc_u32 s12, s13, s15
	s_add_u32 s7, s7, s18
	v_mul_lo_u32 v6, v3, s16
	v_mul_lo_u32 v7, v2, s17
	s_addc_u32 s12, s12, s19
	v_add3_u32 v5, v5, v7, v6
	s_add_u32 s2, s7, s2
	v_lshlrev_b64 v[4:5], 2, v[4:5]
	s_addc_u32 s3, s12, s3
	v_mov_b32_e32 v6, s3
	v_add_co_u32_e32 v4, vcc, s2, v4
	s_lshl_b64 s[12:13], s[16:17], 12
	v_addc_co_u32_e32 v5, vcc, v6, v5, vcc
	v_lshlrev_b32_e32 v6, 2, v2
	s_mov_b64 s[14:15], 0
	v_mov_b32_e32 v7, s13
.LBB29_9:                               ; =>This Inner Loop Header: Depth=1
	global_load_dword v8, v[4:5], off
	v_add_co_u32_e32 v2, vcc, 0x400, v2
	v_addc_co_u32_e32 v3, vcc, 0, v3, vcc
	v_add_co_u32_e64 v4, s[2:3], s12, v4
	v_cmp_le_i64_e32 vcc, s[10:11], v[2:3]
	v_addc_co_u32_e64 v5, s[2:3], v5, v7, s[2:3]
	s_or_b64 s[14:15], vcc, s[14:15]
	s_waitcnt vmcnt(0)
	ds_write_b32 v6, v8
	v_add_u32_e32 v6, 0x1000, v6
	s_andn2_b64 exec, exec, s[14:15]
	s_cbranch_execnz .LBB29_9
.LBB29_10:
	s_or_b64 exec, exec, s[26:27]
	v_pk_mov_b32 v[2:3], s[8:9], s[8:9] op_sel:[0,1]
	v_cmp_ge_i64_e32 vcc, s[24:25], v[2:3]
	s_waitcnt lgkmcnt(0)
	s_barrier
	s_cbranch_vccnz .LBB29_30
; %bb.11:
	s_load_dwordx8 s[12:19], s[4:5], 0x40
	s_mul_i32 s4, s6, s23
	v_and_b32_e32 v2, 63, v0
	v_lshrrev_b32_e32 v8, 4, v0
	v_lshlrev_b32_e32 v9, 2, v0
	s_waitcnt lgkmcnt(0)
	s_mul_i32 s3, s6, s19
	s_mul_hi_u32 s5, s6, s18
	s_mul_i32 s2, s6, s18
	s_add_i32 s3, s5, s3
	s_lshl_b64 s[30:31], s[2:3], 2
	s_add_u32 s2, s12, s30
	s_addc_u32 s3, s13, s31
	s_lshl_b64 s[34:35], s[14:15], 2
	s_add_u32 s26, s2, s34
	s_mul_hi_u32 s2, s6, s22
	s_addc_u32 s27, s3, s35
	s_add_i32 s3, s2, s4
	s_mul_i32 s2, s6, s22
	s_lshl_b64 s[2:3], s[2:3], 2
	s_add_u32 s14, s20, s2
	s_addc_u32 s15, s21, s3
	v_cmp_eq_u32_e64 s[4:5], 0, v2
	v_mad_u64_u32 v[2:3], s[20:21], s16, v0, 0
	v_mov_b32_e32 v4, v3
	s_cmp_gt_i32 s10, 1
	v_mad_u64_u32 v[4:5], s[20:21], s17, v0, v[4:5]
	s_cselect_b64 s[18:19], -1, 0
	s_lshl_b32 s28, s16, 10
	s_lshl_b64 s[20:21], s[24:25], 2
	s_add_u32 s12, s12, s20
	s_addc_u32 s13, s13, s21
	s_add_u32 s12, s12, s34
	s_addc_u32 s13, s13, s35
	v_mov_b32_e32 v3, v4
	s_add_u32 s12, s12, s30
	v_lshlrev_b64 v[2:3], 2, v[2:3]
	s_addc_u32 s13, s13, s31
	v_mov_b32_e32 v4, s13
	v_add_co_u32_e32 v2, vcc, s12, v2
	v_addc_co_u32_e32 v3, vcc, v4, v3, vcc
	v_mbcnt_lo_u32_b32 v4, -1, 0
	v_mbcnt_hi_u32_b32 v19, -1, v4
	v_cmp_gt_i32_e64 s[2:3], s10, v0
	v_cmp_eq_u32_e64 s[6:7], 0, v0
	v_mul_lo_u32 v10, v0, s16
	s_lshl_b64 s[12:13], s[16:17], 12
	v_mov_b32_e32 v11, 0x2004
	v_mov_b32_e32 v12, 0x200c
	;; [unrolled: 1-line block ×8, first 2 shown]
	v_and_b32_e32 v20, 63, v19
	s_branch .LBB29_13
.LBB29_12:                              ;   in Loop: Header=BB29_13 Depth=1
	s_or_b64 exec, exec, s[16:17]
	s_add_u32 s24, s24, 64
	v_add_co_u32_e32 v2, vcc, 0x100, v2
	s_addc_u32 s25, s25, 0
	v_addc_co_u32_e32 v3, vcc, 0, v3, vcc
	v_pk_mov_b32 v[4:5], s[8:9], s[8:9] op_sel:[0,1]
	v_cmp_ge_i64_e32 vcc, s[24:25], v[4:5]
	s_cbranch_vccnz .LBB29_30
.LBB29_13:                              ; =>This Loop Header: Depth=1
                                        ;     Child Loop BB29_15 Depth 2
                                        ;     Child Loop BB29_29 Depth 2
	v_mov_b32_e32 v6, 0
	s_and_saveexec_b64 s[16:17], s[2:3]
	s_cbranch_execz .LBB29_17
; %bb.14:                               ;   in Loop: Header=BB29_13 Depth=1
	s_lshl_b64 s[20:21], s[24:25], 2
	s_add_u32 s22, s26, s20
	s_addc_u32 s23, s27, s21
	s_mov_b64 s[20:21], 0
	v_mov_b32_e32 v6, 0
	v_mov_b32_e32 v7, s23
	;; [unrolled: 1-line block ×5, first 2 shown]
.LBB29_15:                              ;   Parent Loop BB29_13 Depth=1
                                        ; =>  This Inner Loop Header: Depth=2
	v_ashrrev_i32_e32 v5, 31, v4
	v_lshlrev_b64 v[24:25], 2, v[4:5]
	v_add_co_u32_e32 v24, vcc, s22, v24
	v_addc_co_u32_e32 v25, vcc, v7, v25, vcc
	global_load_dword v5, v[24:25], off
	ds_read_b32 v23, v21
	v_add_u32_e32 v22, 0x400, v22
	v_cmp_le_i32_e32 vcc, s10, v22
	v_add_u32_e32 v21, 0x1000, v21
	v_add_u32_e32 v4, s28, v4
	s_or_b64 s[20:21], vcc, s[20:21]
	s_waitcnt vmcnt(0) lgkmcnt(0)
	v_mul_f32_e32 v5, v23, v5
	v_add_f32_e32 v6, v6, v5
	s_andn2_b64 exec, exec, s[20:21]
	s_cbranch_execnz .LBB29_15
; %bb.16:                               ;   in Loop: Header=BB29_13 Depth=1
	s_or_b64 exec, exec, s[20:21]
.LBB29_17:                              ;   in Loop: Header=BB29_13 Depth=1
	s_or_b64 exec, exec, s[16:17]
	s_and_b64 vcc, exec, s[18:19]
	s_cbranch_vccz .LBB29_24
; %bb.18:                               ;   in Loop: Header=BB29_13 Depth=1
	v_cmp_ne_u32_e32 vcc, 63, v20
	v_addc_co_u32_e32 v4, vcc, 0, v19, vcc
	v_lshlrev_b32_e32 v4, 2, v4
	ds_bpermute_b32 v4, v4, v6
	v_cmp_gt_u32_e32 vcc, 62, v20
	v_cndmask_b32_e64 v5, 0, 1, vcc
	v_lshlrev_b32_e32 v5, 1, v5
	v_add_lshl_u32 v5, v5, v19, 2
	s_waitcnt lgkmcnt(0)
	v_add_f32_e32 v4, v6, v4
	ds_bpermute_b32 v5, v5, v4
	v_cmp_gt_u32_e32 vcc, 60, v20
	v_cndmask_b32_e64 v7, 0, 1, vcc
	v_cmp_gt_u32_e32 vcc, 56, v20
	s_waitcnt lgkmcnt(0)
	v_add_f32_e32 v4, v4, v5
	v_lshlrev_b32_e32 v5, 2, v7
	v_add_lshl_u32 v5, v5, v19, 2
	ds_bpermute_b32 v5, v5, v4
	v_cndmask_b32_e64 v7, 0, 1, vcc
	v_cmp_gt_u32_e32 vcc, 48, v20
	s_waitcnt lgkmcnt(0)
	v_add_f32_e32 v4, v4, v5
	v_lshlrev_b32_e32 v5, 3, v7
	v_add_lshl_u32 v5, v5, v19, 2
	ds_bpermute_b32 v5, v5, v4
	;; [unrolled: 7-line block ×3, first 2 shown]
	v_cndmask_b32_e64 v7, 0, 1, vcc
	s_waitcnt lgkmcnt(0)
	v_add_f32_e32 v4, v4, v5
	v_lshlrev_b32_e32 v5, 5, v7
	v_add_lshl_u32 v5, v5, v19, 2
	ds_bpermute_b32 v5, v5, v4
	s_waitcnt lgkmcnt(0)
	v_add_f32_e32 v4, v4, v5
	s_and_saveexec_b64 s[16:17], s[4:5]
	s_cbranch_execz .LBB29_20
; %bb.19:                               ;   in Loop: Header=BB29_13 Depth=1
	ds_write_b32 v8, v4 offset:8192
.LBB29_20:                              ;   in Loop: Header=BB29_13 Depth=1
	s_or_b64 exec, exec, s[16:17]
	s_mov_b64 s[20:21], 0
	s_mov_b64 s[16:17], 0
	s_waitcnt lgkmcnt(0)
	s_barrier
	s_waitcnt lgkmcnt(0)
                                        ; implicit-def: $vgpr5
	s_and_saveexec_b64 s[22:23], s[6:7]
	s_xor_b64 s[22:23], exec, s[22:23]
	s_cbranch_execz .LBB29_22
; %bb.21:                               ;   in Loop: Header=BB29_13 Depth=1
	ds_read2_b32 v[22:23], v11 offset1:1
	ds_read2_b32 v[24:25], v12 offset1:1
	;; [unrolled: 1-line block ×4, first 2 shown]
	s_mov_b64 s[16:17], exec
	s_waitcnt lgkmcnt(3)
	v_add_f32_e32 v4, v4, v22
	v_add_f32_e32 v4, v4, v23
	s_waitcnt lgkmcnt(2)
	v_add_f32_e32 v4, v4, v24
	v_add_f32_e32 v4, v4, v25
	;; [unrolled: 3-line block ×3, first 2 shown]
	s_waitcnt lgkmcnt(0)
	v_add_f32_e32 v7, v4, v28
	ds_read2_b32 v[4:5], v15 offset1:1
	v_add_f32_e32 v7, v7, v29
	ds_read2_b32 v[22:23], v16 offset1:1
	ds_read2_b32 v[24:25], v17 offset1:1
	ds_read_b32 v21, v18 offset:8252
	s_waitcnt lgkmcnt(3)
	v_add_f32_e32 v4, v7, v4
	v_add_f32_e32 v4, v4, v5
	s_waitcnt lgkmcnt(2)
	v_add_f32_e32 v4, v4, v22
	v_add_f32_e32 v4, v4, v23
	;; [unrolled: 3-line block ×3, first 2 shown]
	s_waitcnt lgkmcnt(0)
	v_add_f32_e32 v5, v4, v21
.LBB29_22:                              ;   in Loop: Header=BB29_13 Depth=1
	s_or_b64 exec, exec, s[22:23]
	s_and_b64 vcc, exec, s[20:21]
	s_cbranch_vccnz .LBB29_25
.LBB29_23:                              ;   in Loop: Header=BB29_13 Depth=1
	v_mov_b32_e32 v6, v5
	s_and_saveexec_b64 s[20:21], s[16:17]
	s_cbranch_execnz .LBB29_26
	s_branch .LBB29_27
.LBB29_24:                              ;   in Loop: Header=BB29_13 Depth=1
	s_mov_b64 s[16:17], 0
                                        ; implicit-def: $vgpr5
	s_cbranch_execz .LBB29_23
.LBB29_25:                              ;   in Loop: Header=BB29_13 Depth=1
	s_andn2_b64 s[16:17], s[16:17], exec
	s_and_b64 s[20:21], s[6:7], exec
	s_or_b64 s[16:17], s[16:17], s[20:21]
	s_and_saveexec_b64 s[20:21], s[16:17]
	s_cbranch_execz .LBB29_27
.LBB29_26:                              ;   in Loop: Header=BB29_13 Depth=1
	ds_write_b32 v18, v6 offset:8192
.LBB29_27:                              ;   in Loop: Header=BB29_13 Depth=1
	s_or_b64 exec, exec, s[20:21]
	s_waitcnt lgkmcnt(0)
	s_barrier
	s_and_saveexec_b64 s[16:17], s[0:1]
	s_cbranch_execz .LBB29_12
; %bb.28:                               ;   in Loop: Header=BB29_13 Depth=1
	global_load_dword v6, v18, s[14:15]
	ds_read_b32 v7, v18 offset:8192
	s_mov_b64 s[20:21], 0
	v_mov_b32_e32 v21, v9
	v_pk_mov_b32 v[4:5], v[2:3], v[2:3] op_sel:[0,1]
	s_waitcnt vmcnt(0) lgkmcnt(0)
	v_mul_f32_e64 v22, v7, -v6
	v_pk_mov_b32 v[6:7], v[0:1], v[0:1] op_sel:[0,1]
.LBB29_29:                              ;   Parent Loop BB29_13 Depth=1
                                        ; =>  This Inner Loop Header: Depth=2
	global_load_dword v23, v[4:5], off
	ds_read_b32 v24, v21
	v_add_co_u32_e32 v6, vcc, 0x400, v6
	v_addc_co_u32_e32 v7, vcc, 0, v7, vcc
	v_cmp_le_i64_e32 vcc, s[10:11], v[6:7]
	v_mov_b32_e32 v25, s13
	s_or_b64 s[20:21], vcc, s[20:21]
	v_add_u32_e32 v21, 0x1000, v21
	s_waitcnt vmcnt(0) lgkmcnt(0)
	v_fmac_f32_e32 v23, v22, v24
	global_store_dword v[4:5], v23, off
	v_add_co_u32_e32 v4, vcc, s12, v4
	v_addc_co_u32_e32 v5, vcc, v5, v25, vcc
	s_andn2_b64 exec, exec, s[20:21]
	s_cbranch_execnz .LBB29_29
	s_branch .LBB29_12
.LBB29_30:
	s_endpgm
	.section	.rodata,"a",@progbits
	.p2align	6, 0x0
	.amdhsa_kernel _ZN9rocsolver6v33100L23larf_right_kernel_smallILi1024EflPfEEvT1_S3_T2_lS3_lPKT0_lS4_lS3_l
		.amdhsa_group_segment_fixed_size 8256
		.amdhsa_private_segment_fixed_size 0
		.amdhsa_kernarg_size 96
		.amdhsa_user_sgpr_count 6
		.amdhsa_user_sgpr_private_segment_buffer 1
		.amdhsa_user_sgpr_dispatch_ptr 0
		.amdhsa_user_sgpr_queue_ptr 0
		.amdhsa_user_sgpr_kernarg_segment_ptr 1
		.amdhsa_user_sgpr_dispatch_id 0
		.amdhsa_user_sgpr_flat_scratch_init 0
		.amdhsa_user_sgpr_kernarg_preload_length 0
		.amdhsa_user_sgpr_kernarg_preload_offset 0
		.amdhsa_user_sgpr_private_segment_size 0
		.amdhsa_uses_dynamic_stack 0
		.amdhsa_system_sgpr_private_segment_wavefront_offset 0
		.amdhsa_system_sgpr_workgroup_id_x 1
		.amdhsa_system_sgpr_workgroup_id_y 1
		.amdhsa_system_sgpr_workgroup_id_z 0
		.amdhsa_system_sgpr_workgroup_info 0
		.amdhsa_system_vgpr_workitem_id 0
		.amdhsa_next_free_vgpr 30
		.amdhsa_next_free_sgpr 38
		.amdhsa_accum_offset 32
		.amdhsa_reserve_vcc 1
		.amdhsa_reserve_flat_scratch 0
		.amdhsa_float_round_mode_32 0
		.amdhsa_float_round_mode_16_64 0
		.amdhsa_float_denorm_mode_32 3
		.amdhsa_float_denorm_mode_16_64 3
		.amdhsa_dx10_clamp 1
		.amdhsa_ieee_mode 1
		.amdhsa_fp16_overflow 0
		.amdhsa_tg_split 0
		.amdhsa_exception_fp_ieee_invalid_op 0
		.amdhsa_exception_fp_denorm_src 0
		.amdhsa_exception_fp_ieee_div_zero 0
		.amdhsa_exception_fp_ieee_overflow 0
		.amdhsa_exception_fp_ieee_underflow 0
		.amdhsa_exception_fp_ieee_inexact 0
		.amdhsa_exception_int_div_zero 0
	.end_amdhsa_kernel
	.section	.text._ZN9rocsolver6v33100L23larf_right_kernel_smallILi1024EflPfEEvT1_S3_T2_lS3_lPKT0_lS4_lS3_l,"axG",@progbits,_ZN9rocsolver6v33100L23larf_right_kernel_smallILi1024EflPfEEvT1_S3_T2_lS3_lPKT0_lS4_lS3_l,comdat
.Lfunc_end29:
	.size	_ZN9rocsolver6v33100L23larf_right_kernel_smallILi1024EflPfEEvT1_S3_T2_lS3_lPKT0_lS4_lS3_l, .Lfunc_end29-_ZN9rocsolver6v33100L23larf_right_kernel_smallILi1024EflPfEEvT1_S3_T2_lS3_lPKT0_lS4_lS3_l
                                        ; -- End function
	.section	.AMDGPU.csdata,"",@progbits
; Kernel info:
; codeLenInByte = 1868
; NumSgprs: 42
; NumVgprs: 30
; NumAgprs: 0
; TotalNumVgprs: 30
; ScratchSize: 0
; MemoryBound: 0
; FloatMode: 240
; IeeeMode: 1
; LDSByteSize: 8256 bytes/workgroup (compile time only)
; SGPRBlocks: 5
; VGPRBlocks: 3
; NumSGPRsForWavesPerEU: 42
; NumVGPRsForWavesPerEU: 30
; AccumOffset: 32
; Occupancy: 8
; WaveLimiterHint : 0
; COMPUTE_PGM_RSRC2:SCRATCH_EN: 0
; COMPUTE_PGM_RSRC2:USER_SGPR: 6
; COMPUTE_PGM_RSRC2:TRAP_HANDLER: 0
; COMPUTE_PGM_RSRC2:TGID_X_EN: 1
; COMPUTE_PGM_RSRC2:TGID_Y_EN: 1
; COMPUTE_PGM_RSRC2:TGID_Z_EN: 0
; COMPUTE_PGM_RSRC2:TIDIG_COMP_CNT: 0
; COMPUTE_PGM_RSRC3_GFX90A:ACCUM_OFFSET: 7
; COMPUTE_PGM_RSRC3_GFX90A:TG_SPLIT: 0
	.section	.text._ZN9rocsolver6v33100L22larf_left_kernel_smallILi64EflPKPfEEvT1_S5_T2_lS5_lPKT0_lS6_lS5_l,"axG",@progbits,_ZN9rocsolver6v33100L22larf_left_kernel_smallILi64EflPKPfEEvT1_S5_T2_lS5_lPKT0_lS6_lS5_l,comdat
	.globl	_ZN9rocsolver6v33100L22larf_left_kernel_smallILi64EflPKPfEEvT1_S5_T2_lS5_lPKT0_lS6_lS5_l ; -- Begin function _ZN9rocsolver6v33100L22larf_left_kernel_smallILi64EflPKPfEEvT1_S5_T2_lS5_lPKT0_lS6_lS5_l
	.p2align	8
	.type	_ZN9rocsolver6v33100L22larf_left_kernel_smallILi64EflPKPfEEvT1_S5_T2_lS5_lPKT0_lS6_lS5_l,@function
_ZN9rocsolver6v33100L22larf_left_kernel_smallILi64EflPKPfEEvT1_S5_T2_lS5_lPKT0_lS6_lS5_l: ; @_ZN9rocsolver6v33100L22larf_left_kernel_smallILi64EflPKPfEEvT1_S5_T2_lS5_lPKT0_lS6_lS5_l
; %bb.0:
	s_load_dwordx8 s[12:19], s[4:5], 0x0
	s_load_dwordx2 s[28:29], s[4:5], 0x20
	s_load_dwordx8 s[20:27], s[4:5], 0x30
	s_mov_b32 s10, s7
	s_mov_b32 s7, 0
	s_lshl_b64 s[0:1], s[6:7], 3
	s_waitcnt lgkmcnt(0)
	s_add_u32 s2, s16, s0
	s_addc_u32 s3, s17, s1
	s_add_u32 s0, s24, s0
	v_cmp_gt_i64_e64 s[8:9], s[28:29], 0
	s_addc_u32 s1, s25, s1
	s_mov_b64 s[24:25], 0
	s_and_b64 vcc, exec, s[8:9]
	s_cbranch_vccnz .LBB30_2
; %bb.1:
	s_sub_u32 s7, 1, s12
	s_subb_u32 s8, 0, s13
	s_mul_i32 s9, s7, s29
	s_mul_hi_u32 s11, s7, s28
	s_add_i32 s9, s11, s9
	s_mul_i32 s8, s8, s28
	s_add_i32 s25, s9, s8
	s_mul_i32 s24, s7, s28
.LBB30_2:
	s_load_dwordx2 s[8:9], s[0:1], 0x0
	v_mov_b32_e32 v1, 0
	v_cmp_gt_i64_e64 s[0:1], s[12:13], v[0:1]
	v_not_b32_e32 v12, 0
	v_not_b32_e32 v13, v0
	s_and_saveexec_b64 s[16:17], s[0:1]
	s_cbranch_execz .LBB30_10
; %bb.3:
	s_load_dwordx2 s[30:31], s[2:3], 0x0
	v_mov_b32_e32 v2, s13
	v_add_co_u32_e32 v4, vcc, s12, v13
	v_addc_co_u32_e32 v5, vcc, v12, v2, vcc
	v_cmp_lt_u64_e32 vcc, 63, v[4:5]
	s_mov_b64 s[2:3], -1
	v_pk_mov_b32 v[2:3], v[0:1], v[0:1] op_sel:[0,1]
	s_and_saveexec_b64 s[34:35], vcc
	s_cbranch_execz .LBB30_7
; %bb.4:
	s_lshl_b64 s[2:3], s[18:19], 2
	s_waitcnt lgkmcnt(0)
	s_add_u32 s7, s30, s2
	v_lshrrev_b64 v[2:3], 6, v[4:5]
	s_addc_u32 s11, s31, s3
	s_lshl_b64 s[2:3], s[24:25], 2
	v_add_co_u32_e32 v6, vcc, 1, v2
	s_add_u32 s7, s7, s2
	v_addc_co_u32_e32 v7, vcc, 0, v3, vcc
	v_or_b32_e32 v2, 64, v0
	v_mov_b32_e32 v3, v1
	s_addc_u32 s2, s11, s3
	v_and_b32_e32 v8, -2, v6
	v_mov_b32_e32 v9, v7
	v_pk_mov_b32 v[4:5], v[2:3], v[2:3] op_sel:[0,1]
	s_mov_b32 s11, s28
	s_mov_b32 s33, s29
	s_mov_b64 s[36:37], 0
	v_mov_b32_e32 v14, s2
	s_movk_i32 s38, 0x80
	v_pk_mov_b32 v[10:11], v[8:9], v[8:9] op_sel:[0,1]
	v_pk_mov_b32 v[2:3], v[0:1], v[0:1] op_sel:[0,1]
.LBB30_5:                               ; =>This Inner Loop Header: Depth=1
	v_mul_lo_u32 v21, v3, s28
	v_mul_lo_u32 v22, v2, s29
	v_mad_u64_u32 v[18:19], s[2:3], v2, s28, 0
	v_add3_u32 v19, v19, v22, v21
	v_mul_lo_u32 v15, v5, s11
	v_mul_lo_u32 v20, v4, s33
	v_mad_u64_u32 v[16:17], s[2:3], v4, s11, 0
	v_lshlrev_b64 v[18:19], 2, v[18:19]
	v_add3_u32 v17, v17, v20, v15
	v_add_co_u32_e32 v18, vcc, s7, v18
	v_lshlrev_b64 v[16:17], 2, v[16:17]
	v_addc_co_u32_e32 v19, vcc, v14, v19, vcc
	v_add_co_u32_e32 v16, vcc, s7, v16
	v_addc_co_u32_e32 v17, vcc, v14, v17, vcc
	global_load_dword v15, v[18:19], off
	global_load_dword v20, v[16:17], off
	v_lshlrev_b32_e32 v17, 2, v4
	v_add_co_u32_e32 v4, vcc, s38, v4
	v_add_co_u32_e64 v10, s[2:3], -2, v10
	v_addc_co_u32_e64 v11, s[2:3], -1, v11, s[2:3]
	v_addc_co_u32_e32 v5, vcc, 0, v5, vcc
	v_lshlrev_b32_e32 v16, 2, v2
	v_add_co_u32_e32 v2, vcc, 0x80, v2
	v_cmp_eq_u64_e64 s[2:3], 0, v[10:11]
	v_addc_co_u32_e32 v3, vcc, 0, v3, vcc
	s_or_b64 s[36:37], s[2:3], s[36:37]
	s_waitcnt vmcnt(1)
	ds_write_b32 v16, v15
	s_waitcnt vmcnt(0)
	ds_write_b32 v17, v20
	s_andn2_b64 exec, exec, s[36:37]
	s_cbranch_execnz .LBB30_5
; %bb.6:
	s_or_b64 exec, exec, s[36:37]
	v_lshlrev_b64 v[2:3], 6, v[8:9]
	v_cmp_ne_u64_e32 vcc, v[6:7], v[8:9]
	v_or_b32_e32 v3, 0, v3
	v_or_b32_e32 v2, v2, v0
	s_orn2_b64 s[2:3], vcc, exec
.LBB30_7:
	s_or_b64 exec, exec, s[34:35]
	s_and_b64 exec, exec, s[2:3]
	s_cbranch_execz .LBB30_10
; %bb.8:
	v_mad_u64_u32 v[4:5], s[2:3], v2, s28, 0
	s_lshl_b64 s[2:3], s[24:25], 2
	s_lshl_b64 s[18:19], s[18:19], 2
	s_waitcnt lgkmcnt(0)
	s_add_u32 s7, s30, s18
	v_mul_lo_u32 v6, v3, s28
	v_mul_lo_u32 v7, v2, s29
	s_addc_u32 s11, s31, s19
	v_add3_u32 v5, v5, v7, v6
	s_add_u32 s2, s7, s2
	v_lshlrev_b64 v[4:5], 2, v[4:5]
	s_addc_u32 s3, s11, s3
	v_mov_b32_e32 v6, s3
	v_add_co_u32_e32 v4, vcc, s2, v4
	s_lshl_b64 s[2:3], s[28:29], 8
	v_addc_co_u32_e32 v5, vcc, v6, v5, vcc
	v_lshlrev_b32_e32 v6, 2, v2
	s_mov_b64 s[18:19], 0
	v_mov_b32_e32 v7, s3
.LBB30_9:                               ; =>This Inner Loop Header: Depth=1
	global_load_dword v8, v[4:5], off
	v_add_co_u32_e32 v2, vcc, 64, v2
	v_addc_co_u32_e32 v3, vcc, 0, v3, vcc
	v_add_co_u32_e32 v4, vcc, s2, v4
	v_addc_co_u32_e32 v5, vcc, v5, v7, vcc
	v_cmp_le_i64_e32 vcc, s[12:13], v[2:3]
	s_or_b64 s[18:19], vcc, s[18:19]
	s_waitcnt vmcnt(0)
	ds_write_b32 v6, v8
	v_add_u32_e32 v6, 0x100, v6
	s_andn2_b64 exec, exec, s[18:19]
	s_cbranch_execnz .LBB30_9
.LBB30_10:
	s_or_b64 exec, exec, s[16:17]
	s_mov_b32 s11, 0
	v_pk_mov_b32 v[2:3], s[14:15], s[14:15] op_sel:[0,1]
	v_cmp_ge_i64_e32 vcc, s[10:11], v[2:3]
	s_waitcnt lgkmcnt(0)
	; wave barrier
	s_waitcnt lgkmcnt(0)
	s_cbranch_vccnz .LBB30_37
; %bb.11:
	s_load_dwordx2 s[4:5], s[4:5], 0x50
	s_mul_i32 s2, s6, s23
	s_mul_hi_u32 s3, s6, s22
	s_add_i32 s3, s3, s2
	s_mul_i32 s2, s6, s22
	s_lshl_b64 s[2:3], s[2:3], 2
	s_add_u32 s16, s20, s2
	s_addc_u32 s17, s21, s3
	s_cmp_gt_i32 s12, 1
	s_waitcnt lgkmcnt(0)
	s_mul_i32 s6, s10, s5
	s_mul_hi_u32 s7, s10, s4
	s_cselect_b64 s[18:19], -1, 0
	s_add_i32 s29, s7, s6
	s_mul_i32 s28, s10, s4
	v_mov_b32_e32 v3, s13
	v_add_co_u32_e32 v2, vcc, s12, v13
	s_add_u32 s6, s28, s26
	v_addc_co_u32_e32 v3, vcc, v12, v3, vcc
	s_addc_u32 s7, s29, s27
	s_lshl_b64 s[22:23], s[4:5], 8
	s_lshl_b64 s[28:29], s[28:29], 2
	;; [unrolled: 1-line block ×3, first 2 shown]
	v_mov_b32_e32 v5, s7
	v_add_co_u32_e32 v4, vcc, s6, v0
	s_add_u32 s26, s28, s26
	v_addc_co_u32_e32 v5, vcc, 0, v5, vcc
	v_lshrrev_b64 v[6:7], 6, v[2:3]
	s_addc_u32 s27, s29, s27
	v_add_co_u32_e32 v6, vcc, 1, v6
	s_add_u32 s33, s8, s26
	v_lshlrev_b64 v[4:5], 2, v[4:5]
	v_addc_co_u32_e32 v7, vcc, 0, v7, vcc
	v_lshlrev_b32_e32 v16, 2, v0
	s_addc_u32 s38, s9, s27
	v_mov_b32_e32 v9, s9
	v_add_co_u32_e32 v8, vcc, s8, v4
	s_mov_b64 s[4:5], 0x840
	s_mov_b32 s6, -1
	v_mov_b32_e32 v4, s38
	v_add_co_u32_e64 v18, s[8:9], s33, v16
	v_addc_co_u32_e32 v9, vcc, v9, v5, vcc
	v_cmp_gt_u64_e64 s[24:25], s[4:5], v[2:3]
	s_mov_b64 s[4:5], 0x83f
	s_brev_b32 s7, -4
	v_and_b32_e32 v12, -2, v6
	v_mov_b32_e32 v13, v7
	v_addc_co_u32_e64 v19, s[8:9], 0, v4, s[8:9]
	v_cmp_lt_u64_e64 s[4:5], s[4:5], v[2:3]
	v_lshlrev_b64 v[10:11], 2, v[2:3]
	v_cmp_lt_u64_e32 vcc, s[6:7], v[2:3]
	v_lshlrev_b64 v[2:3], 6, v[12:13]
	s_movk_i32 s8, 0x100
	v_mbcnt_lo_u32_b32 v4, -1, 0
	v_or_b32_e32 v15, 0, v3
	v_or_b32_e32 v14, v2, v0
	v_add_co_u32_e64 v20, s[8:9], s8, v18
	v_mbcnt_hi_u32_b32 v35, -1, v4
	v_cmp_gt_i32_e64 s[2:3], s12, v0
	v_cmp_eq_u32_e64 s[20:21], 0, v0
	v_lshrrev_b32_e32 v32, 4, v0
	v_and_b32_e32 v10, 0xffffff00, v10
	v_or_b32_e32 v2, 64, v0
	v_mov_b32_e32 v3, v1
	v_cmp_ne_u64_e64 s[6:7], v[6:7], v[12:13]
	v_lshlrev_b32_e32 v33, 2, v0
	v_mov_b32_e32 v17, 0
	v_addc_co_u32_e64 v21, s[8:9], 0, v19, s[8:9]
	s_mov_b64 s[26:27], 0
	v_lshlrev_b64 v[22:23], 2, v[14:15]
	v_mov_b32_e32 v34, s23
	v_pk_mov_b32 v[24:25], s[14:15], s[14:15] op_sel:[0,1]
	v_and_b32_e32 v36, 63, v35
	s_xor_b64 s[14:15], vcc, -1
	s_movk_i32 s39, 0x80
	s_branch .LBB30_13
.LBB30_12:                              ;   in Loop: Header=BB30_13 Depth=1
	s_or_b64 exec, exec, s[28:29]
	s_add_u32 s10, s10, 64
	v_add_co_u32_e32 v18, vcc, s22, v18
	s_addc_u32 s11, s11, 0
	v_addc_co_u32_e32 v19, vcc, v19, v34, vcc
	s_add_u32 s26, s26, 1
	v_add_co_u32_e32 v20, vcc, s22, v20
	s_addc_u32 s27, s27, 0
	v_addc_co_u32_e32 v21, vcc, v21, v34, vcc
	s_add_u32 s33, s33, s22
	v_cmp_ge_i64_e32 vcc, s[10:11], v[24:25]
	s_addc_u32 s38, s38, s23
	s_cbranch_vccnz .LBB30_37
.LBB30_13:                              ; =>This Loop Header: Depth=1
                                        ;     Child Loop BB30_15 Depth 2
                                        ;     Child Loop BB30_29 Depth 2
	;; [unrolled: 1-line block ×3, first 2 shown]
	v_mov_b32_e32 v6, 0
	s_and_saveexec_b64 s[8:9], s[2:3]
	s_cbranch_execz .LBB30_17
; %bb.14:                               ;   in Loop: Header=BB30_13 Depth=1
	s_mov_b64 s[28:29], 0
	v_mov_b32_e32 v6, 0
	v_pk_mov_b32 v[4:5], v[18:19], v[18:19] op_sel:[0,1]
	v_mov_b32_e32 v7, v33
	v_mov_b32_e32 v26, v0
.LBB30_15:                              ;   Parent Loop BB30_13 Depth=1
                                        ; =>  This Inner Loop Header: Depth=2
	global_load_dword v27, v[4:5], off
	ds_read_b32 v28, v7
	v_add_co_u32_e32 v4, vcc, 0x100, v4
	v_add_u32_e32 v26, 64, v26
	v_addc_co_u32_e32 v5, vcc, 0, v5, vcc
	v_cmp_le_i32_e32 vcc, s12, v26
	v_add_u32_e32 v7, 0x100, v7
	s_or_b64 s[28:29], vcc, s[28:29]
	s_waitcnt vmcnt(0) lgkmcnt(0)
	v_mul_f32_e32 v27, v28, v27
	v_add_f32_e32 v6, v6, v27
	s_andn2_b64 exec, exec, s[28:29]
	s_cbranch_execnz .LBB30_15
; %bb.16:                               ;   in Loop: Header=BB30_13 Depth=1
	s_or_b64 exec, exec, s[28:29]
.LBB30_17:                              ;   in Loop: Header=BB30_13 Depth=1
	s_or_b64 exec, exec, s[8:9]
	s_and_b64 vcc, exec, s[18:19]
	s_cbranch_vccz .LBB30_22
; %bb.18:                               ;   in Loop: Header=BB30_13 Depth=1
	v_cmp_ne_u32_e32 vcc, 63, v36
	v_addc_co_u32_e32 v4, vcc, 0, v35, vcc
	v_lshlrev_b32_e32 v4, 2, v4
	ds_bpermute_b32 v4, v4, v6
	v_cmp_gt_u32_e32 vcc, 62, v36
	v_cndmask_b32_e64 v5, 0, 1, vcc
	v_lshlrev_b32_e32 v5, 1, v5
	v_add_lshl_u32 v5, v5, v35, 2
	s_waitcnt lgkmcnt(0)
	v_add_f32_e32 v4, v6, v4
	ds_bpermute_b32 v5, v5, v4
	v_cmp_gt_u32_e32 vcc, 60, v36
	v_cndmask_b32_e64 v7, 0, 1, vcc
	v_cmp_gt_u32_e32 vcc, 56, v36
	s_waitcnt lgkmcnt(0)
	v_add_f32_e32 v4, v4, v5
	v_lshlrev_b32_e32 v5, 2, v7
	v_add_lshl_u32 v5, v5, v35, 2
	ds_bpermute_b32 v5, v5, v4
	v_cndmask_b32_e64 v7, 0, 1, vcc
	v_cmp_gt_u32_e32 vcc, 48, v36
	s_waitcnt lgkmcnt(0)
	v_add_f32_e32 v4, v4, v5
	v_lshlrev_b32_e32 v5, 3, v7
	v_add_lshl_u32 v5, v5, v35, 2
	ds_bpermute_b32 v5, v5, v4
	;; [unrolled: 7-line block ×3, first 2 shown]
	v_cndmask_b32_e64 v7, 0, 1, vcc
	s_waitcnt lgkmcnt(0)
	v_add_f32_e32 v4, v4, v5
	v_lshlrev_b32_e32 v5, 5, v7
	v_add_lshl_u32 v5, v5, v35, 2
	ds_bpermute_b32 v5, v5, v4
	s_waitcnt lgkmcnt(0)
	v_add_f32_e32 v4, v4, v5
	s_and_saveexec_b64 s[8:9], s[20:21]
	s_cbranch_execz .LBB30_20
; %bb.19:                               ;   in Loop: Header=BB30_13 Depth=1
	ds_write_b32 v32, v4 offset:8192
.LBB30_20:                              ;   in Loop: Header=BB30_13 Depth=1
	s_or_b64 exec, exec, s[8:9]
	s_waitcnt lgkmcnt(0)
	; wave barrier
	s_waitcnt lgkmcnt(0)
	s_mov_b64 s[8:9], s[20:21]
.LBB30_21:                              ;   in Loop: Header=BB30_13 Depth=1
	v_mov_b32_e32 v6, v4
	s_and_saveexec_b64 s[28:29], s[8:9]
	s_cbranch_execnz .LBB30_24
	s_branch .LBB30_25
.LBB30_22:                              ;   in Loop: Header=BB30_13 Depth=1
	s_mov_b64 s[8:9], 0
                                        ; implicit-def: $vgpr4
	s_cbranch_execz .LBB30_21
; %bb.23:                               ;   in Loop: Header=BB30_13 Depth=1
	s_andn2_b64 s[8:9], s[8:9], exec
	s_and_b64 s[28:29], s[20:21], exec
	s_or_b64 s[8:9], s[8:9], s[28:29]
	s_and_saveexec_b64 s[28:29], s[8:9]
	s_cbranch_execz .LBB30_25
.LBB30_24:                              ;   in Loop: Header=BB30_13 Depth=1
	ds_write_b32 v17, v6 offset:8192
.LBB30_25:                              ;   in Loop: Header=BB30_13 Depth=1
	s_or_b64 exec, exec, s[28:29]
	s_waitcnt lgkmcnt(0)
	; wave barrier
	s_waitcnt lgkmcnt(0)
	s_and_saveexec_b64 s[28:29], s[0:1]
	s_cbranch_execz .LBB30_12
; %bb.26:                               ;   in Loop: Header=BB30_13 Depth=1
	global_load_dword v6, v17, s[16:17]
	ds_read_b32 v7, v17 offset:8192
	s_mov_b64 s[8:9], s[24:25]
	v_pk_mov_b32 v[4:5], v[0:1], v[0:1] op_sel:[0,1]
	s_waitcnt vmcnt(0) lgkmcnt(0)
	v_mul_f32_e64 v26, v7, -v6
	v_pk_mov_b32 v[6:7], v[16:17], v[16:17] op_sel:[0,1]
	s_and_saveexec_b64 s[30:31], s[4:5]
	s_cbranch_execz .LBB30_34
; %bb.27:                               ;   in Loop: Header=BB30_13 Depth=1
	s_mul_i32 s8, s23, s26
	s_mul_i32 s9, s22, s27
	v_mov_b32_e32 v4, s26
	s_add_i32 s34, s9, s8
	v_mad_u64_u32 v[4:5], s[8:9], s22, v4, v[8:9]
	v_add_u32_e32 v5, s34, v5
	v_add_co_u32_e32 v6, vcc, v4, v10
	v_addc_co_u32_e32 v7, vcc, v5, v11, vcc
	v_cmp_ge_u64_e32 vcc, v[6:7], v[4:5]
	s_mov_b64 s[8:9], -1
	s_and_b64 s[36:37], vcc, s[14:15]
	v_pk_mov_b32 v[4:5], v[0:1], v[0:1] op_sel:[0,1]
	v_pk_mov_b32 v[6:7], v[16:17], v[16:17] op_sel:[0,1]
	s_and_saveexec_b64 s[34:35], s[36:37]
	s_cbranch_execz .LBB30_33
; %bb.28:                               ;   in Loop: Header=BB30_13 Depth=1
	v_pk_mov_b32 v[6:7], v[2:3], v[2:3] op_sel:[0,1]
	v_mov_b32_e32 v27, v26
	s_mov_b64 s[36:37], 0
	v_pk_mov_b32 v[28:29], v[12:13], v[12:13] op_sel:[0,1]
	v_pk_mov_b32 v[30:31], v[20:21], v[20:21] op_sel:[0,1]
	;; [unrolled: 1-line block ×3, first 2 shown]
.LBB30_29:                              ;   Parent Loop BB30_13 Depth=1
                                        ; =>  This Inner Loop Header: Depth=2
	global_load_dword v38, v[30:31], off offset:-256
	global_load_dword v39, v[30:31], off
	v_lshlrev_b32_e32 v37, 2, v4
	v_lshlrev_b32_e32 v41, 2, v6
	ds_read_b32 v40, v37
	ds_read_b32 v41, v41
	v_add_co_u32_e32 v6, vcc, s39, v6
	v_addc_co_u32_e32 v7, vcc, 0, v7, vcc
	v_add_co_u32_e64 v28, s[8:9], -2, v28
	v_add_co_u32_e32 v4, vcc, s39, v4
	v_addc_co_u32_e64 v29, s[8:9], -1, v29, s[8:9]
	v_addc_co_u32_e32 v5, vcc, 0, v5, vcc
	v_cmp_eq_u64_e64 s[8:9], 0, v[28:29]
	s_or_b64 s[36:37], s[8:9], s[36:37]
	s_waitcnt vmcnt(0) lgkmcnt(0)
	v_pk_fma_f32 v[38:39], v[26:27], v[40:41], v[38:39]
	global_store_dword v[30:31], v38, off offset:-256
	global_store_dword v[30:31], v39, off
	v_add_co_u32_e32 v30, vcc, 0x200, v30
	v_addc_co_u32_e32 v31, vcc, 0, v31, vcc
	s_andn2_b64 exec, exec, s[36:37]
	s_cbranch_execnz .LBB30_29
; %bb.30:                               ;   in Loop: Header=BB30_13 Depth=1
	s_or_b64 exec, exec, s[36:37]
	s_mov_b64 s[8:9], 0
	s_and_saveexec_b64 s[36:37], s[6:7]
	s_xor_b64 s[36:37], exec, s[36:37]
; %bb.31:                               ;   in Loop: Header=BB30_13 Depth=1
	s_mov_b64 s[8:9], exec
; %bb.32:                               ;   in Loop: Header=BB30_13 Depth=1
	s_or_b64 exec, exec, s[36:37]
	s_orn2_b64 s[8:9], s[8:9], exec
	v_pk_mov_b32 v[4:5], v[14:15], v[14:15] op_sel:[0,1]
	v_pk_mov_b32 v[6:7], v[22:23], v[22:23] op_sel:[0,1]
.LBB30_33:                              ;   in Loop: Header=BB30_13 Depth=1
	s_or_b64 exec, exec, s[34:35]
	s_andn2_b64 s[34:35], s[24:25], exec
	s_and_b64 s[8:9], s[8:9], exec
	s_or_b64 s[8:9], s[34:35], s[8:9]
.LBB30_34:                              ;   in Loop: Header=BB30_13 Depth=1
	s_or_b64 exec, exec, s[30:31]
	s_and_b64 exec, exec, s[8:9]
	s_cbranch_execz .LBB30_12
; %bb.35:                               ;   in Loop: Header=BB30_13 Depth=1
	v_mov_b32_e32 v28, s38
	v_add_co_u32_e32 v6, vcc, s33, v6
	v_lshlrev_b32_e32 v27, 2, v4
	v_addc_co_u32_e32 v7, vcc, v28, v7, vcc
	s_mov_b64 s[8:9], 0
.LBB30_36:                              ;   Parent Loop BB30_13 Depth=1
                                        ; =>  This Inner Loop Header: Depth=2
	global_load_dword v28, v[6:7], off
	ds_read_b32 v29, v27
	v_add_co_u32_e32 v4, vcc, 64, v4
	v_addc_co_u32_e32 v5, vcc, 0, v5, vcc
	v_cmp_le_i64_e32 vcc, s[12:13], v[4:5]
	s_or_b64 s[8:9], vcc, s[8:9]
	v_add_u32_e32 v27, 0x100, v27
	s_waitcnt vmcnt(0) lgkmcnt(0)
	v_fmac_f32_e32 v28, v26, v29
	global_store_dword v[6:7], v28, off
	v_add_co_u32_e32 v6, vcc, 0x100, v6
	v_addc_co_u32_e32 v7, vcc, 0, v7, vcc
	s_andn2_b64 exec, exec, s[8:9]
	s_cbranch_execnz .LBB30_36
	s_branch .LBB30_12
.LBB30_37:
	s_endpgm
	.section	.rodata,"a",@progbits
	.p2align	6, 0x0
	.amdhsa_kernel _ZN9rocsolver6v33100L22larf_left_kernel_smallILi64EflPKPfEEvT1_S5_T2_lS5_lPKT0_lS6_lS5_l
		.amdhsa_group_segment_fixed_size 8448
		.amdhsa_private_segment_fixed_size 0
		.amdhsa_kernarg_size 96
		.amdhsa_user_sgpr_count 6
		.amdhsa_user_sgpr_private_segment_buffer 1
		.amdhsa_user_sgpr_dispatch_ptr 0
		.amdhsa_user_sgpr_queue_ptr 0
		.amdhsa_user_sgpr_kernarg_segment_ptr 1
		.amdhsa_user_sgpr_dispatch_id 0
		.amdhsa_user_sgpr_flat_scratch_init 0
		.amdhsa_user_sgpr_kernarg_preload_length 0
		.amdhsa_user_sgpr_kernarg_preload_offset 0
		.amdhsa_user_sgpr_private_segment_size 0
		.amdhsa_uses_dynamic_stack 0
		.amdhsa_system_sgpr_private_segment_wavefront_offset 0
		.amdhsa_system_sgpr_workgroup_id_x 1
		.amdhsa_system_sgpr_workgroup_id_y 1
		.amdhsa_system_sgpr_workgroup_id_z 0
		.amdhsa_system_sgpr_workgroup_info 0
		.amdhsa_system_vgpr_workitem_id 0
		.amdhsa_next_free_vgpr 42
		.amdhsa_next_free_sgpr 40
		.amdhsa_accum_offset 44
		.amdhsa_reserve_vcc 1
		.amdhsa_reserve_flat_scratch 0
		.amdhsa_float_round_mode_32 0
		.amdhsa_float_round_mode_16_64 0
		.amdhsa_float_denorm_mode_32 3
		.amdhsa_float_denorm_mode_16_64 3
		.amdhsa_dx10_clamp 1
		.amdhsa_ieee_mode 1
		.amdhsa_fp16_overflow 0
		.amdhsa_tg_split 0
		.amdhsa_exception_fp_ieee_invalid_op 0
		.amdhsa_exception_fp_denorm_src 0
		.amdhsa_exception_fp_ieee_div_zero 0
		.amdhsa_exception_fp_ieee_overflow 0
		.amdhsa_exception_fp_ieee_underflow 0
		.amdhsa_exception_fp_ieee_inexact 0
		.amdhsa_exception_int_div_zero 0
	.end_amdhsa_kernel
	.section	.text._ZN9rocsolver6v33100L22larf_left_kernel_smallILi64EflPKPfEEvT1_S5_T2_lS5_lPKT0_lS6_lS5_l,"axG",@progbits,_ZN9rocsolver6v33100L22larf_left_kernel_smallILi64EflPKPfEEvT1_S5_T2_lS5_lPKT0_lS6_lS5_l,comdat
.Lfunc_end30:
	.size	_ZN9rocsolver6v33100L22larf_left_kernel_smallILi64EflPKPfEEvT1_S5_T2_lS5_lPKT0_lS6_lS5_l, .Lfunc_end30-_ZN9rocsolver6v33100L22larf_left_kernel_smallILi64EflPKPfEEvT1_S5_T2_lS5_lPKT0_lS6_lS5_l
                                        ; -- End function
	.section	.AMDGPU.csdata,"",@progbits
; Kernel info:
; codeLenInByte = 2088
; NumSgprs: 44
; NumVgprs: 42
; NumAgprs: 0
; TotalNumVgprs: 42
; ScratchSize: 0
; MemoryBound: 0
; FloatMode: 240
; IeeeMode: 1
; LDSByteSize: 8448 bytes/workgroup (compile time only)
; SGPRBlocks: 5
; VGPRBlocks: 5
; NumSGPRsForWavesPerEU: 44
; NumVGPRsForWavesPerEU: 42
; AccumOffset: 44
; Occupancy: 2
; WaveLimiterHint : 1
; COMPUTE_PGM_RSRC2:SCRATCH_EN: 0
; COMPUTE_PGM_RSRC2:USER_SGPR: 6
; COMPUTE_PGM_RSRC2:TRAP_HANDLER: 0
; COMPUTE_PGM_RSRC2:TGID_X_EN: 1
; COMPUTE_PGM_RSRC2:TGID_Y_EN: 1
; COMPUTE_PGM_RSRC2:TGID_Z_EN: 0
; COMPUTE_PGM_RSRC2:TIDIG_COMP_CNT: 0
; COMPUTE_PGM_RSRC3_GFX90A:ACCUM_OFFSET: 10
; COMPUTE_PGM_RSRC3_GFX90A:TG_SPLIT: 0
	.section	.text._ZN9rocsolver6v33100L22larf_left_kernel_smallILi128EflPKPfEEvT1_S5_T2_lS5_lPKT0_lS6_lS5_l,"axG",@progbits,_ZN9rocsolver6v33100L22larf_left_kernel_smallILi128EflPKPfEEvT1_S5_T2_lS5_lPKT0_lS6_lS5_l,comdat
	.globl	_ZN9rocsolver6v33100L22larf_left_kernel_smallILi128EflPKPfEEvT1_S5_T2_lS5_lPKT0_lS6_lS5_l ; -- Begin function _ZN9rocsolver6v33100L22larf_left_kernel_smallILi128EflPKPfEEvT1_S5_T2_lS5_lPKT0_lS6_lS5_l
	.p2align	8
	.type	_ZN9rocsolver6v33100L22larf_left_kernel_smallILi128EflPKPfEEvT1_S5_T2_lS5_lPKT0_lS6_lS5_l,@function
_ZN9rocsolver6v33100L22larf_left_kernel_smallILi128EflPKPfEEvT1_S5_T2_lS5_lPKT0_lS6_lS5_l: ; @_ZN9rocsolver6v33100L22larf_left_kernel_smallILi128EflPKPfEEvT1_S5_T2_lS5_lPKT0_lS6_lS5_l
; %bb.0:
	s_load_dwordx8 s[16:23], s[4:5], 0x0
	s_load_dwordx2 s[26:27], s[4:5], 0x20
	s_load_dwordx8 s[8:15], s[4:5], 0x30
	s_mov_b32 s24, s7
	s_mov_b32 s7, 0
	s_lshl_b64 s[0:1], s[6:7], 3
	s_waitcnt lgkmcnt(0)
	s_add_u32 s2, s20, s0
	s_addc_u32 s3, s21, s1
	s_add_u32 s0, s12, s0
	s_addc_u32 s1, s13, s1
	v_cmp_gt_i64_e64 s[12:13], s[26:27], 0
	s_mov_b64 s[28:29], 0
	s_and_b64 vcc, exec, s[12:13]
	s_cbranch_vccnz .LBB31_2
; %bb.1:
	s_sub_u32 s7, 1, s16
	s_subb_u32 s12, 0, s17
	s_mul_i32 s13, s7, s27
	s_mul_hi_u32 s20, s7, s26
	s_add_i32 s13, s20, s13
	s_mul_i32 s12, s12, s26
	s_add_i32 s29, s13, s12
	s_mul_i32 s28, s7, s26
.LBB31_2:
	s_load_dwordx2 s[12:13], s[0:1], 0x0
	v_mov_b32_e32 v1, 0
	v_cmp_gt_i64_e64 s[0:1], s[16:17], v[0:1]
	v_not_b32_e32 v12, 0
	v_not_b32_e32 v13, v0
	s_and_saveexec_b64 s[20:21], s[0:1]
	s_cbranch_execz .LBB31_10
; %bb.3:
	s_load_dwordx2 s[30:31], s[2:3], 0x0
	v_mov_b32_e32 v2, s17
	v_add_co_u32_e32 v4, vcc, s16, v13
	v_addc_co_u32_e32 v5, vcc, v12, v2, vcc
	s_mov_b64 s[2:3], 0x7f
	v_cmp_lt_u64_e32 vcc, s[2:3], v[4:5]
	s_mov_b64 s[2:3], -1
	v_pk_mov_b32 v[2:3], v[0:1], v[0:1] op_sel:[0,1]
	s_and_saveexec_b64 s[34:35], vcc
	s_cbranch_execz .LBB31_7
; %bb.4:
	s_lshl_b64 s[2:3], s[22:23], 2
	s_waitcnt lgkmcnt(0)
	s_add_u32 s7, s30, s2
	v_lshrrev_b64 v[2:3], 7, v[4:5]
	s_addc_u32 s25, s31, s3
	s_lshl_b64 s[2:3], s[28:29], 2
	v_add_co_u32_e32 v6, vcc, 1, v2
	s_add_u32 s7, s7, s2
	v_addc_co_u32_e32 v7, vcc, 0, v3, vcc
	v_or_b32_e32 v2, 0x80, v0
	v_mov_b32_e32 v3, v1
	s_addc_u32 s2, s25, s3
	v_and_b32_e32 v8, -2, v6
	v_mov_b32_e32 v9, v7
	v_pk_mov_b32 v[4:5], v[2:3], v[2:3] op_sel:[0,1]
	s_mov_b32 s25, s26
	s_mov_b32 s33, s27
	s_mov_b64 s[36:37], 0
	v_mov_b32_e32 v14, s2
	s_movk_i32 s38, 0x100
	v_pk_mov_b32 v[10:11], v[8:9], v[8:9] op_sel:[0,1]
	v_pk_mov_b32 v[2:3], v[0:1], v[0:1] op_sel:[0,1]
.LBB31_5:                               ; =>This Inner Loop Header: Depth=1
	v_mul_lo_u32 v21, v3, s26
	v_mul_lo_u32 v22, v2, s27
	v_mad_u64_u32 v[18:19], s[2:3], v2, s26, 0
	v_add3_u32 v19, v19, v22, v21
	v_mul_lo_u32 v15, v5, s25
	v_mul_lo_u32 v20, v4, s33
	v_mad_u64_u32 v[16:17], s[2:3], v4, s25, 0
	v_lshlrev_b64 v[18:19], 2, v[18:19]
	v_add3_u32 v17, v17, v20, v15
	v_add_co_u32_e32 v18, vcc, s7, v18
	v_lshlrev_b64 v[16:17], 2, v[16:17]
	v_addc_co_u32_e32 v19, vcc, v14, v19, vcc
	v_add_co_u32_e32 v16, vcc, s7, v16
	v_addc_co_u32_e32 v17, vcc, v14, v17, vcc
	global_load_dword v15, v[18:19], off
	global_load_dword v20, v[16:17], off
	v_lshlrev_b32_e32 v17, 2, v4
	v_add_co_u32_e32 v4, vcc, s38, v4
	v_add_co_u32_e64 v10, s[2:3], -2, v10
	v_addc_co_u32_e64 v11, s[2:3], -1, v11, s[2:3]
	v_addc_co_u32_e32 v5, vcc, 0, v5, vcc
	v_lshlrev_b32_e32 v16, 2, v2
	v_add_co_u32_e32 v2, vcc, 0x100, v2
	v_cmp_eq_u64_e64 s[2:3], 0, v[10:11]
	v_addc_co_u32_e32 v3, vcc, 0, v3, vcc
	s_or_b64 s[36:37], s[2:3], s[36:37]
	s_waitcnt vmcnt(1)
	ds_write_b32 v16, v15
	s_waitcnt vmcnt(0)
	ds_write_b32 v17, v20
	s_andn2_b64 exec, exec, s[36:37]
	s_cbranch_execnz .LBB31_5
; %bb.6:
	s_or_b64 exec, exec, s[36:37]
	v_lshlrev_b64 v[2:3], 7, v[8:9]
	v_cmp_ne_u64_e32 vcc, v[6:7], v[8:9]
	v_or_b32_e32 v3, 0, v3
	v_or_b32_e32 v2, v2, v0
	s_orn2_b64 s[2:3], vcc, exec
.LBB31_7:
	s_or_b64 exec, exec, s[34:35]
	s_and_b64 exec, exec, s[2:3]
	s_cbranch_execz .LBB31_10
; %bb.8:
	v_mad_u64_u32 v[4:5], s[2:3], v2, s26, 0
	s_lshl_b64 s[2:3], s[28:29], 2
	s_lshl_b64 s[22:23], s[22:23], 2
	s_waitcnt lgkmcnt(0)
	s_add_u32 s7, s30, s22
	v_mul_lo_u32 v6, v3, s26
	v_mul_lo_u32 v7, v2, s27
	s_addc_u32 s22, s31, s23
	v_add3_u32 v5, v5, v7, v6
	s_add_u32 s2, s7, s2
	v_lshlrev_b64 v[4:5], 2, v[4:5]
	s_addc_u32 s3, s22, s3
	v_mov_b32_e32 v6, s3
	v_add_co_u32_e32 v4, vcc, s2, v4
	s_lshl_b64 s[22:23], s[26:27], 9
	v_addc_co_u32_e32 v5, vcc, v6, v5, vcc
	v_lshlrev_b32_e32 v6, 2, v2
	s_mov_b64 s[26:27], 0
	v_mov_b32_e32 v7, s23
.LBB31_9:                               ; =>This Inner Loop Header: Depth=1
	global_load_dword v8, v[4:5], off
	v_add_co_u32_e32 v2, vcc, 0x80, v2
	v_addc_co_u32_e32 v3, vcc, 0, v3, vcc
	v_add_co_u32_e64 v4, s[2:3], s22, v4
	v_cmp_le_i64_e32 vcc, s[16:17], v[2:3]
	v_addc_co_u32_e64 v5, s[2:3], v5, v7, s[2:3]
	s_or_b64 s[26:27], vcc, s[26:27]
	s_waitcnt vmcnt(0)
	ds_write_b32 v6, v8
	v_add_u32_e32 v6, 0x200, v6
	s_andn2_b64 exec, exec, s[26:27]
	s_cbranch_execnz .LBB31_9
.LBB31_10:
	s_or_b64 exec, exec, s[20:21]
	s_mov_b32 s25, 0
	v_pk_mov_b32 v[2:3], s[18:19], s[18:19] op_sel:[0,1]
	v_cmp_ge_i64_e32 vcc, s[24:25], v[2:3]
	s_waitcnt lgkmcnt(0)
	s_barrier
	s_cbranch_vccnz .LBB31_39
; %bb.11:
	s_load_dwordx2 s[26:27], s[4:5], 0x50
	s_mul_i32 s2, s6, s11
	s_mul_hi_u32 s3, s6, s10
	s_add_i32 s3, s3, s2
	s_mul_i32 s2, s6, s10
	s_lshl_b64 s[2:3], s[2:3], 2
	s_add_u32 s20, s8, s2
	s_addc_u32 s21, s9, s3
	s_cmp_gt_i32 s16, 1
	s_waitcnt lgkmcnt(0)
	s_mul_i32 s8, s24, s27
	s_mul_hi_u32 s9, s24, s26
	s_cselect_b64 s[22:23], -1, 0
	v_and_b32_e32 v2, 63, v0
	s_add_i32 s31, s9, s8
	s_mul_i32 s30, s24, s26
	v_cmp_eq_u32_e64 s[4:5], 0, v2
	v_mov_b32_e32 v3, s17
	v_add_co_u32_e32 v2, vcc, s16, v13
	s_add_u32 s8, s30, s14
	v_addc_co_u32_e32 v3, vcc, v12, v3, vcc
	s_addc_u32 s9, s31, s15
	s_lshl_b64 s[26:27], s[26:27], 8
	s_lshl_b64 s[30:31], s[30:31], 2
	;; [unrolled: 1-line block ×3, first 2 shown]
	v_mov_b32_e32 v5, s9
	v_add_co_u32_e32 v4, vcc, s8, v0
	s_add_u32 s14, s30, s14
	v_addc_co_u32_e32 v5, vcc, 0, v5, vcc
	v_lshrrev_b64 v[6:7], 7, v[2:3]
	s_addc_u32 s15, s31, s15
	v_add_co_u32_e32 v6, vcc, 1, v6
	s_add_u32 s33, s12, s14
	v_lshlrev_b64 v[4:5], 2, v[4:5]
	v_addc_co_u32_e32 v7, vcc, 0, v7, vcc
	v_lshlrev_b32_e32 v16, 2, v0
	s_addc_u32 s42, s13, s15
	v_mov_b32_e32 v9, s13
	v_add_co_u32_e32 v8, vcc, s12, v4
	s_mov_b64 s[8:9], 0x1080
	s_mov_b32 s10, -1
	v_mov_b32_e32 v4, s42
	v_add_co_u32_e64 v18, s[12:13], s33, v16
	v_addc_co_u32_e32 v9, vcc, v9, v5, vcc
	v_cmp_gt_u64_e64 s[28:29], s[8:9], v[2:3]
	s_mov_b64 s[8:9], 0x107f
	s_brev_b32 s11, -4
	v_and_b32_e32 v12, -2, v6
	v_mov_b32_e32 v13, v7
	v_addc_co_u32_e64 v19, s[12:13], 0, v4, s[12:13]
	v_cmp_lt_u64_e64 s[8:9], s[8:9], v[2:3]
	v_lshlrev_b64 v[10:11], 2, v[2:3]
	v_cmp_lt_u64_e32 vcc, s[10:11], v[2:3]
	v_lshlrev_b64 v[2:3], 7, v[12:13]
	s_movk_i32 s12, 0x200
	v_mbcnt_lo_u32_b32 v4, -1, 0
	v_or_b32_e32 v15, 0, v3
	v_or_b32_e32 v14, v2, v0
	v_add_co_u32_e64 v20, s[12:13], s12, v18
	v_mbcnt_hi_u32_b32 v32, -1, v4
	v_cmp_gt_i32_e64 s[2:3], s16, v0
	v_lshrrev_b32_e32 v30, 4, v0
	v_cmp_eq_u32_e64 s[6:7], 0, v0
	v_and_b32_e32 v10, 0xfffffe00, v10
	v_or_b32_e32 v2, 0x80, v0
	v_mov_b32_e32 v3, v1
	v_cmp_ne_u64_e64 s[10:11], v[6:7], v[12:13]
	v_lshlrev_b32_e32 v31, 2, v0
	v_mov_b32_e32 v17, 0
	v_addc_co_u32_e64 v21, s[12:13], 0, v19, s[12:13]
	s_mov_b64 s[14:15], 0
	v_and_b32_e32 v33, 63, v32
	s_xor_b64 s[30:31], vcc, -1
	s_movk_i32 s43, 0x100
	v_lshlrev_b64 v[22:23], 2, v[14:15]
	s_branch .LBB31_13
.LBB31_12:                              ;   in Loop: Header=BB31_13 Depth=1
	s_or_b64 exec, exec, s[34:35]
	s_add_u32 s24, s24, 64
	v_mov_b32_e32 v4, s27
	v_add_co_u32_e32 v18, vcc, s26, v18
	s_addc_u32 s25, s25, 0
	v_addc_co_u32_e32 v19, vcc, v19, v4, vcc
	s_add_u32 s14, s14, 1
	v_add_co_u32_e32 v20, vcc, s26, v20
	s_addc_u32 s15, s15, 0
	v_addc_co_u32_e32 v21, vcc, v21, v4, vcc
	v_pk_mov_b32 v[4:5], s[18:19], s[18:19] op_sel:[0,1]
	s_add_u32 s33, s33, s26
	v_cmp_ge_i64_e32 vcc, s[24:25], v[4:5]
	s_addc_u32 s42, s42, s27
	s_cbranch_vccnz .LBB31_39
.LBB31_13:                              ; =>This Loop Header: Depth=1
                                        ;     Child Loop BB31_15 Depth 2
                                        ;     Child Loop BB31_31 Depth 2
	;; [unrolled: 1-line block ×3, first 2 shown]
	v_mov_b32_e32 v6, 0
	s_and_saveexec_b64 s[12:13], s[2:3]
	s_cbranch_execz .LBB31_17
; %bb.14:                               ;   in Loop: Header=BB31_13 Depth=1
	s_mov_b64 s[34:35], 0
	v_mov_b32_e32 v6, 0
	v_pk_mov_b32 v[4:5], v[18:19], v[18:19] op_sel:[0,1]
	v_mov_b32_e32 v7, v31
	v_mov_b32_e32 v24, v0
.LBB31_15:                              ;   Parent Loop BB31_13 Depth=1
                                        ; =>  This Inner Loop Header: Depth=2
	global_load_dword v25, v[4:5], off
	ds_read_b32 v26, v7
	v_add_co_u32_e32 v4, vcc, 0x200, v4
	v_add_u32_e32 v24, 0x80, v24
	v_addc_co_u32_e32 v5, vcc, 0, v5, vcc
	v_cmp_le_i32_e32 vcc, s16, v24
	v_add_u32_e32 v7, 0x200, v7
	s_or_b64 s[34:35], vcc, s[34:35]
	s_waitcnt vmcnt(0) lgkmcnt(0)
	v_mul_f32_e32 v25, v26, v25
	v_add_f32_e32 v6, v6, v25
	s_andn2_b64 exec, exec, s[34:35]
	s_cbranch_execnz .LBB31_15
; %bb.16:                               ;   in Loop: Header=BB31_13 Depth=1
	s_or_b64 exec, exec, s[34:35]
.LBB31_17:                              ;   in Loop: Header=BB31_13 Depth=1
	s_or_b64 exec, exec, s[12:13]
	s_and_b64 vcc, exec, s[22:23]
	s_cbranch_vccz .LBB31_24
; %bb.18:                               ;   in Loop: Header=BB31_13 Depth=1
	v_cmp_ne_u32_e32 vcc, 63, v33
	v_addc_co_u32_e32 v4, vcc, 0, v32, vcc
	v_lshlrev_b32_e32 v4, 2, v4
	ds_bpermute_b32 v4, v4, v6
	v_cmp_gt_u32_e32 vcc, 62, v33
	v_cndmask_b32_e64 v5, 0, 1, vcc
	v_lshlrev_b32_e32 v5, 1, v5
	v_add_lshl_u32 v5, v5, v32, 2
	s_waitcnt lgkmcnt(0)
	v_add_f32_e32 v4, v6, v4
	ds_bpermute_b32 v5, v5, v4
	v_cmp_gt_u32_e32 vcc, 60, v33
	v_cndmask_b32_e64 v7, 0, 1, vcc
	v_cmp_gt_u32_e32 vcc, 56, v33
	s_waitcnt lgkmcnt(0)
	v_add_f32_e32 v4, v4, v5
	v_lshlrev_b32_e32 v5, 2, v7
	v_add_lshl_u32 v5, v5, v32, 2
	ds_bpermute_b32 v5, v5, v4
	v_cndmask_b32_e64 v7, 0, 1, vcc
	v_cmp_gt_u32_e32 vcc, 48, v33
	s_waitcnt lgkmcnt(0)
	v_add_f32_e32 v4, v4, v5
	v_lshlrev_b32_e32 v5, 3, v7
	v_add_lshl_u32 v5, v5, v32, 2
	ds_bpermute_b32 v5, v5, v4
	;; [unrolled: 7-line block ×3, first 2 shown]
	v_cndmask_b32_e64 v7, 0, 1, vcc
	s_waitcnt lgkmcnt(0)
	v_add_f32_e32 v4, v4, v5
	v_lshlrev_b32_e32 v5, 5, v7
	v_add_lshl_u32 v5, v5, v32, 2
	ds_bpermute_b32 v5, v5, v4
	s_waitcnt lgkmcnt(0)
	v_add_f32_e32 v5, v4, v5
	s_and_saveexec_b64 s[12:13], s[4:5]
	s_cbranch_execz .LBB31_20
; %bb.19:                               ;   in Loop: Header=BB31_13 Depth=1
	ds_write_b32 v30, v5 offset:8192
.LBB31_20:                              ;   in Loop: Header=BB31_13 Depth=1
	s_or_b64 exec, exec, s[12:13]
	s_mov_b64 s[34:35], 0
	s_mov_b64 s[12:13], 0
	s_waitcnt lgkmcnt(0)
	s_barrier
	s_waitcnt lgkmcnt(0)
                                        ; implicit-def: $vgpr4
	s_and_saveexec_b64 s[36:37], s[6:7]
	s_xor_b64 s[36:37], exec, s[36:37]
	s_cbranch_execz .LBB31_22
; %bb.21:                               ;   in Loop: Header=BB31_13 Depth=1
	ds_read_b32 v4, v17 offset:8196
	s_mov_b64 s[12:13], exec
	s_waitcnt lgkmcnt(0)
	v_add_f32_e32 v4, v5, v4
.LBB31_22:                              ;   in Loop: Header=BB31_13 Depth=1
	s_or_b64 exec, exec, s[36:37]
	s_and_b64 vcc, exec, s[34:35]
	s_cbranch_vccnz .LBB31_25
.LBB31_23:                              ;   in Loop: Header=BB31_13 Depth=1
	v_mov_b32_e32 v6, v4
	s_and_saveexec_b64 s[34:35], s[12:13]
	s_cbranch_execnz .LBB31_26
	s_branch .LBB31_27
.LBB31_24:                              ;   in Loop: Header=BB31_13 Depth=1
	s_mov_b64 s[12:13], 0
                                        ; implicit-def: $vgpr4
	s_cbranch_execz .LBB31_23
.LBB31_25:                              ;   in Loop: Header=BB31_13 Depth=1
	s_andn2_b64 s[12:13], s[12:13], exec
	s_and_b64 s[34:35], s[6:7], exec
	s_or_b64 s[12:13], s[12:13], s[34:35]
	s_and_saveexec_b64 s[34:35], s[12:13]
	s_cbranch_execz .LBB31_27
.LBB31_26:                              ;   in Loop: Header=BB31_13 Depth=1
	ds_write_b32 v17, v6 offset:8192
.LBB31_27:                              ;   in Loop: Header=BB31_13 Depth=1
	s_or_b64 exec, exec, s[34:35]
	s_waitcnt lgkmcnt(0)
	s_barrier
	s_and_saveexec_b64 s[34:35], s[0:1]
	s_cbranch_execz .LBB31_12
; %bb.28:                               ;   in Loop: Header=BB31_13 Depth=1
	global_load_dword v6, v17, s[20:21]
	ds_read_b32 v7, v17 offset:8192
	s_mov_b64 s[12:13], s[28:29]
	v_pk_mov_b32 v[4:5], v[0:1], v[0:1] op_sel:[0,1]
	s_waitcnt vmcnt(0) lgkmcnt(0)
	v_mul_f32_e64 v24, v7, -v6
	v_pk_mov_b32 v[6:7], v[16:17], v[16:17] op_sel:[0,1]
	s_and_saveexec_b64 s[36:37], s[8:9]
	s_cbranch_execz .LBB31_36
; %bb.29:                               ;   in Loop: Header=BB31_13 Depth=1
	s_mul_i32 s12, s27, s14
	s_mul_i32 s13, s26, s15
	v_mov_b32_e32 v4, s14
	s_add_i32 s38, s13, s12
	v_mad_u64_u32 v[4:5], s[12:13], s26, v4, v[8:9]
	v_add_u32_e32 v5, s38, v5
	v_add_co_u32_e32 v6, vcc, v4, v10
	v_addc_co_u32_e32 v7, vcc, v5, v11, vcc
	v_cmp_ge_u64_e32 vcc, v[6:7], v[4:5]
	s_mov_b64 s[12:13], -1
	s_and_b64 s[40:41], vcc, s[30:31]
	v_pk_mov_b32 v[4:5], v[0:1], v[0:1] op_sel:[0,1]
	v_pk_mov_b32 v[6:7], v[16:17], v[16:17] op_sel:[0,1]
	s_and_saveexec_b64 s[38:39], s[40:41]
	s_cbranch_execz .LBB31_35
; %bb.30:                               ;   in Loop: Header=BB31_13 Depth=1
	v_pk_mov_b32 v[6:7], v[2:3], v[2:3] op_sel:[0,1]
	v_mov_b32_e32 v25, v24
	s_mov_b64 s[40:41], 0
	v_pk_mov_b32 v[26:27], v[12:13], v[12:13] op_sel:[0,1]
	v_pk_mov_b32 v[28:29], v[20:21], v[20:21] op_sel:[0,1]
	;; [unrolled: 1-line block ×3, first 2 shown]
.LBB31_31:                              ;   Parent Loop BB31_13 Depth=1
                                        ; =>  This Inner Loop Header: Depth=2
	global_load_dword v34, v[28:29], off offset:-512
	global_load_dword v35, v[28:29], off
	v_lshlrev_b32_e32 v36, 2, v4
	v_lshlrev_b32_e32 v37, 2, v6
	ds_read_b32 v36, v36
	ds_read_b32 v37, v37
	v_add_co_u32_e32 v6, vcc, s43, v6
	v_addc_co_u32_e32 v7, vcc, 0, v7, vcc
	v_add_co_u32_e64 v26, s[12:13], -2, v26
	v_add_co_u32_e32 v4, vcc, s43, v4
	v_addc_co_u32_e64 v27, s[12:13], -1, v27, s[12:13]
	v_addc_co_u32_e32 v5, vcc, 0, v5, vcc
	v_cmp_eq_u64_e64 s[12:13], 0, v[26:27]
	s_or_b64 s[40:41], s[12:13], s[40:41]
	s_waitcnt vmcnt(0) lgkmcnt(0)
	v_pk_fma_f32 v[34:35], v[24:25], v[36:37], v[34:35]
	global_store_dword v[28:29], v34, off offset:-512
	global_store_dword v[28:29], v35, off
	v_add_co_u32_e32 v28, vcc, 0x400, v28
	v_addc_co_u32_e32 v29, vcc, 0, v29, vcc
	s_andn2_b64 exec, exec, s[40:41]
	s_cbranch_execnz .LBB31_31
; %bb.32:                               ;   in Loop: Header=BB31_13 Depth=1
	s_or_b64 exec, exec, s[40:41]
	s_mov_b64 s[12:13], 0
	s_and_saveexec_b64 s[40:41], s[10:11]
	s_xor_b64 s[40:41], exec, s[40:41]
; %bb.33:                               ;   in Loop: Header=BB31_13 Depth=1
	s_mov_b64 s[12:13], exec
; %bb.34:                               ;   in Loop: Header=BB31_13 Depth=1
	s_or_b64 exec, exec, s[40:41]
	s_orn2_b64 s[12:13], s[12:13], exec
	v_pk_mov_b32 v[4:5], v[14:15], v[14:15] op_sel:[0,1]
	v_pk_mov_b32 v[6:7], v[22:23], v[22:23] op_sel:[0,1]
.LBB31_35:                              ;   in Loop: Header=BB31_13 Depth=1
	s_or_b64 exec, exec, s[38:39]
	s_andn2_b64 s[38:39], s[28:29], exec
	s_and_b64 s[12:13], s[12:13], exec
	s_or_b64 s[12:13], s[38:39], s[12:13]
.LBB31_36:                              ;   in Loop: Header=BB31_13 Depth=1
	s_or_b64 exec, exec, s[36:37]
	s_and_b64 exec, exec, s[12:13]
	s_cbranch_execz .LBB31_12
; %bb.37:                               ;   in Loop: Header=BB31_13 Depth=1
	v_mov_b32_e32 v26, s42
	v_add_co_u32_e32 v6, vcc, s33, v6
	v_lshlrev_b32_e32 v25, 2, v4
	v_addc_co_u32_e32 v7, vcc, v26, v7, vcc
	s_mov_b64 s[12:13], 0
.LBB31_38:                              ;   Parent Loop BB31_13 Depth=1
                                        ; =>  This Inner Loop Header: Depth=2
	global_load_dword v26, v[6:7], off
	ds_read_b32 v27, v25
	v_add_co_u32_e32 v4, vcc, 0x80, v4
	v_addc_co_u32_e32 v5, vcc, 0, v5, vcc
	v_cmp_le_i64_e32 vcc, s[16:17], v[4:5]
	s_or_b64 s[12:13], vcc, s[12:13]
	v_add_u32_e32 v25, 0x200, v25
	s_waitcnt vmcnt(0) lgkmcnt(0)
	v_fmac_f32_e32 v26, v24, v27
	global_store_dword v[6:7], v26, off
	v_add_co_u32_e32 v6, vcc, 0x200, v6
	v_addc_co_u32_e32 v7, vcc, 0, v7, vcc
	s_andn2_b64 exec, exec, s[12:13]
	s_cbranch_execnz .LBB31_38
	s_branch .LBB31_12
.LBB31_39:
	s_endpgm
	.section	.rodata,"a",@progbits
	.p2align	6, 0x0
	.amdhsa_kernel _ZN9rocsolver6v33100L22larf_left_kernel_smallILi128EflPKPfEEvT1_S5_T2_lS5_lPKT0_lS6_lS5_l
		.amdhsa_group_segment_fixed_size 8704
		.amdhsa_private_segment_fixed_size 0
		.amdhsa_kernarg_size 96
		.amdhsa_user_sgpr_count 6
		.amdhsa_user_sgpr_private_segment_buffer 1
		.amdhsa_user_sgpr_dispatch_ptr 0
		.amdhsa_user_sgpr_queue_ptr 0
		.amdhsa_user_sgpr_kernarg_segment_ptr 1
		.amdhsa_user_sgpr_dispatch_id 0
		.amdhsa_user_sgpr_flat_scratch_init 0
		.amdhsa_user_sgpr_kernarg_preload_length 0
		.amdhsa_user_sgpr_kernarg_preload_offset 0
		.amdhsa_user_sgpr_private_segment_size 0
		.amdhsa_uses_dynamic_stack 0
		.amdhsa_system_sgpr_private_segment_wavefront_offset 0
		.amdhsa_system_sgpr_workgroup_id_x 1
		.amdhsa_system_sgpr_workgroup_id_y 1
		.amdhsa_system_sgpr_workgroup_id_z 0
		.amdhsa_system_sgpr_workgroup_info 0
		.amdhsa_system_vgpr_workitem_id 0
		.amdhsa_next_free_vgpr 38
		.amdhsa_next_free_sgpr 44
		.amdhsa_accum_offset 40
		.amdhsa_reserve_vcc 1
		.amdhsa_reserve_flat_scratch 0
		.amdhsa_float_round_mode_32 0
		.amdhsa_float_round_mode_16_64 0
		.amdhsa_float_denorm_mode_32 3
		.amdhsa_float_denorm_mode_16_64 3
		.amdhsa_dx10_clamp 1
		.amdhsa_ieee_mode 1
		.amdhsa_fp16_overflow 0
		.amdhsa_tg_split 0
		.amdhsa_exception_fp_ieee_invalid_op 0
		.amdhsa_exception_fp_denorm_src 0
		.amdhsa_exception_fp_ieee_div_zero 0
		.amdhsa_exception_fp_ieee_overflow 0
		.amdhsa_exception_fp_ieee_underflow 0
		.amdhsa_exception_fp_ieee_inexact 0
		.amdhsa_exception_int_div_zero 0
	.end_amdhsa_kernel
	.section	.text._ZN9rocsolver6v33100L22larf_left_kernel_smallILi128EflPKPfEEvT1_S5_T2_lS5_lPKT0_lS6_lS5_l,"axG",@progbits,_ZN9rocsolver6v33100L22larf_left_kernel_smallILi128EflPKPfEEvT1_S5_T2_lS5_lPKT0_lS6_lS5_l,comdat
.Lfunc_end31:
	.size	_ZN9rocsolver6v33100L22larf_left_kernel_smallILi128EflPKPfEEvT1_S5_T2_lS5_lPKT0_lS6_lS5_l, .Lfunc_end31-_ZN9rocsolver6v33100L22larf_left_kernel_smallILi128EflPKPfEEvT1_S5_T2_lS5_lPKT0_lS6_lS5_l
                                        ; -- End function
	.section	.AMDGPU.csdata,"",@progbits
; Kernel info:
; codeLenInByte = 2188
; NumSgprs: 48
; NumVgprs: 38
; NumAgprs: 0
; TotalNumVgprs: 38
; ScratchSize: 0
; MemoryBound: 0
; FloatMode: 240
; IeeeMode: 1
; LDSByteSize: 8704 bytes/workgroup (compile time only)
; SGPRBlocks: 5
; VGPRBlocks: 4
; NumSGPRsForWavesPerEU: 48
; NumVGPRsForWavesPerEU: 38
; AccumOffset: 40
; Occupancy: 4
; WaveLimiterHint : 1
; COMPUTE_PGM_RSRC2:SCRATCH_EN: 0
; COMPUTE_PGM_RSRC2:USER_SGPR: 6
; COMPUTE_PGM_RSRC2:TRAP_HANDLER: 0
; COMPUTE_PGM_RSRC2:TGID_X_EN: 1
; COMPUTE_PGM_RSRC2:TGID_Y_EN: 1
; COMPUTE_PGM_RSRC2:TGID_Z_EN: 0
; COMPUTE_PGM_RSRC2:TIDIG_COMP_CNT: 0
; COMPUTE_PGM_RSRC3_GFX90A:ACCUM_OFFSET: 9
; COMPUTE_PGM_RSRC3_GFX90A:TG_SPLIT: 0
	.section	.text._ZN9rocsolver6v33100L22larf_left_kernel_smallILi256EflPKPfEEvT1_S5_T2_lS5_lPKT0_lS6_lS5_l,"axG",@progbits,_ZN9rocsolver6v33100L22larf_left_kernel_smallILi256EflPKPfEEvT1_S5_T2_lS5_lPKT0_lS6_lS5_l,comdat
	.globl	_ZN9rocsolver6v33100L22larf_left_kernel_smallILi256EflPKPfEEvT1_S5_T2_lS5_lPKT0_lS6_lS5_l ; -- Begin function _ZN9rocsolver6v33100L22larf_left_kernel_smallILi256EflPKPfEEvT1_S5_T2_lS5_lPKT0_lS6_lS5_l
	.p2align	8
	.type	_ZN9rocsolver6v33100L22larf_left_kernel_smallILi256EflPKPfEEvT1_S5_T2_lS5_lPKT0_lS6_lS5_l,@function
_ZN9rocsolver6v33100L22larf_left_kernel_smallILi256EflPKPfEEvT1_S5_T2_lS5_lPKT0_lS6_lS5_l: ; @_ZN9rocsolver6v33100L22larf_left_kernel_smallILi256EflPKPfEEvT1_S5_T2_lS5_lPKT0_lS6_lS5_l
; %bb.0:
	s_load_dwordx8 s[16:23], s[4:5], 0x0
	s_load_dwordx2 s[26:27], s[4:5], 0x20
	s_load_dwordx8 s[8:15], s[4:5], 0x30
	s_mov_b32 s24, s7
	s_mov_b32 s7, 0
	s_lshl_b64 s[0:1], s[6:7], 3
	s_waitcnt lgkmcnt(0)
	s_add_u32 s2, s20, s0
	s_addc_u32 s3, s21, s1
	s_add_u32 s0, s12, s0
	s_addc_u32 s1, s13, s1
	v_cmp_gt_i64_e64 s[12:13], s[26:27], 0
	s_mov_b64 s[28:29], 0
	s_and_b64 vcc, exec, s[12:13]
	s_cbranch_vccnz .LBB32_2
; %bb.1:
	s_sub_u32 s7, 1, s16
	s_subb_u32 s12, 0, s17
	s_mul_i32 s13, s7, s27
	s_mul_hi_u32 s20, s7, s26
	s_add_i32 s13, s20, s13
	s_mul_i32 s12, s12, s26
	s_add_i32 s29, s13, s12
	s_mul_i32 s28, s7, s26
.LBB32_2:
	s_load_dwordx2 s[12:13], s[0:1], 0x0
	v_mov_b32_e32 v1, 0
	v_cmp_gt_i64_e64 s[0:1], s[16:17], v[0:1]
	v_not_b32_e32 v12, 0
	v_not_b32_e32 v13, v0
	s_and_saveexec_b64 s[20:21], s[0:1]
	s_cbranch_execz .LBB32_10
; %bb.3:
	s_load_dwordx2 s[30:31], s[2:3], 0x0
	v_mov_b32_e32 v2, s17
	v_add_co_u32_e32 v4, vcc, s16, v13
	v_addc_co_u32_e32 v5, vcc, v12, v2, vcc
	s_mov_b64 s[2:3], 0xff
	v_cmp_lt_u64_e32 vcc, s[2:3], v[4:5]
	s_mov_b64 s[2:3], -1
	v_pk_mov_b32 v[2:3], v[0:1], v[0:1] op_sel:[0,1]
	s_and_saveexec_b64 s[34:35], vcc
	s_cbranch_execz .LBB32_7
; %bb.4:
	s_lshl_b64 s[2:3], s[22:23], 2
	s_waitcnt lgkmcnt(0)
	s_add_u32 s7, s30, s2
	v_lshrrev_b64 v[2:3], 8, v[4:5]
	s_addc_u32 s25, s31, s3
	s_lshl_b64 s[2:3], s[28:29], 2
	v_add_co_u32_e32 v6, vcc, 1, v2
	s_add_u32 s7, s7, s2
	v_addc_co_u32_e32 v7, vcc, 0, v3, vcc
	v_or_b32_e32 v2, 0x100, v0
	v_mov_b32_e32 v3, v1
	s_addc_u32 s2, s25, s3
	v_and_b32_e32 v8, -2, v6
	v_mov_b32_e32 v9, v7
	v_pk_mov_b32 v[4:5], v[2:3], v[2:3] op_sel:[0,1]
	s_mov_b32 s25, s26
	s_mov_b32 s33, s27
	s_mov_b64 s[36:37], 0
	v_mov_b32_e32 v14, s2
	s_movk_i32 s38, 0x200
	v_pk_mov_b32 v[10:11], v[8:9], v[8:9] op_sel:[0,1]
	v_pk_mov_b32 v[2:3], v[0:1], v[0:1] op_sel:[0,1]
.LBB32_5:                               ; =>This Inner Loop Header: Depth=1
	v_mul_lo_u32 v21, v3, s26
	v_mul_lo_u32 v22, v2, s27
	v_mad_u64_u32 v[18:19], s[2:3], v2, s26, 0
	v_add3_u32 v19, v19, v22, v21
	v_mul_lo_u32 v15, v5, s25
	v_mul_lo_u32 v20, v4, s33
	v_mad_u64_u32 v[16:17], s[2:3], v4, s25, 0
	v_lshlrev_b64 v[18:19], 2, v[18:19]
	v_add3_u32 v17, v17, v20, v15
	v_add_co_u32_e32 v18, vcc, s7, v18
	v_lshlrev_b64 v[16:17], 2, v[16:17]
	v_addc_co_u32_e32 v19, vcc, v14, v19, vcc
	v_add_co_u32_e32 v16, vcc, s7, v16
	v_addc_co_u32_e32 v17, vcc, v14, v17, vcc
	global_load_dword v15, v[18:19], off
	global_load_dword v20, v[16:17], off
	v_lshlrev_b32_e32 v17, 2, v4
	v_add_co_u32_e32 v4, vcc, s38, v4
	v_add_co_u32_e64 v10, s[2:3], -2, v10
	v_addc_co_u32_e64 v11, s[2:3], -1, v11, s[2:3]
	v_addc_co_u32_e32 v5, vcc, 0, v5, vcc
	v_lshlrev_b32_e32 v16, 2, v2
	v_add_co_u32_e32 v2, vcc, 0x200, v2
	v_cmp_eq_u64_e64 s[2:3], 0, v[10:11]
	v_addc_co_u32_e32 v3, vcc, 0, v3, vcc
	s_or_b64 s[36:37], s[2:3], s[36:37]
	s_waitcnt vmcnt(1)
	ds_write_b32 v16, v15
	s_waitcnt vmcnt(0)
	ds_write_b32 v17, v20
	s_andn2_b64 exec, exec, s[36:37]
	s_cbranch_execnz .LBB32_5
; %bb.6:
	s_or_b64 exec, exec, s[36:37]
	v_lshlrev_b64 v[2:3], 8, v[8:9]
	v_cmp_ne_u64_e32 vcc, v[6:7], v[8:9]
	v_or_b32_e32 v3, 0, v3
	v_or_b32_e32 v2, v2, v0
	s_orn2_b64 s[2:3], vcc, exec
.LBB32_7:
	s_or_b64 exec, exec, s[34:35]
	s_and_b64 exec, exec, s[2:3]
	s_cbranch_execz .LBB32_10
; %bb.8:
	v_mad_u64_u32 v[4:5], s[2:3], v2, s26, 0
	s_lshl_b64 s[2:3], s[28:29], 2
	s_lshl_b64 s[22:23], s[22:23], 2
	s_waitcnt lgkmcnt(0)
	s_add_u32 s7, s30, s22
	v_mul_lo_u32 v6, v3, s26
	v_mul_lo_u32 v7, v2, s27
	s_addc_u32 s22, s31, s23
	v_add3_u32 v5, v5, v7, v6
	s_add_u32 s2, s7, s2
	v_lshlrev_b64 v[4:5], 2, v[4:5]
	s_addc_u32 s3, s22, s3
	v_mov_b32_e32 v6, s3
	v_add_co_u32_e32 v4, vcc, s2, v4
	s_lshl_b64 s[22:23], s[26:27], 10
	v_addc_co_u32_e32 v5, vcc, v6, v5, vcc
	v_lshlrev_b32_e32 v6, 2, v2
	s_mov_b64 s[26:27], 0
	v_mov_b32_e32 v7, s23
.LBB32_9:                               ; =>This Inner Loop Header: Depth=1
	global_load_dword v8, v[4:5], off
	v_add_co_u32_e32 v2, vcc, 0x100, v2
	v_addc_co_u32_e32 v3, vcc, 0, v3, vcc
	v_add_co_u32_e64 v4, s[2:3], s22, v4
	v_cmp_le_i64_e32 vcc, s[16:17], v[2:3]
	v_addc_co_u32_e64 v5, s[2:3], v5, v7, s[2:3]
	s_or_b64 s[26:27], vcc, s[26:27]
	s_waitcnt vmcnt(0)
	ds_write_b32 v6, v8
	v_add_u32_e32 v6, 0x400, v6
	s_andn2_b64 exec, exec, s[26:27]
	s_cbranch_execnz .LBB32_9
.LBB32_10:
	s_or_b64 exec, exec, s[20:21]
	s_mov_b32 s25, 0
	v_pk_mov_b32 v[2:3], s[18:19], s[18:19] op_sel:[0,1]
	v_cmp_ge_i64_e32 vcc, s[24:25], v[2:3]
	s_waitcnt lgkmcnt(0)
	s_barrier
	s_cbranch_vccnz .LBB32_39
; %bb.11:
	s_load_dwordx2 s[26:27], s[4:5], 0x50
	s_mul_i32 s2, s6, s11
	s_mul_hi_u32 s3, s6, s10
	s_add_i32 s3, s3, s2
	s_mul_i32 s2, s6, s10
	s_lshl_b64 s[2:3], s[2:3], 2
	s_add_u32 s20, s8, s2
	s_addc_u32 s21, s9, s3
	s_cmp_gt_i32 s16, 1
	s_waitcnt lgkmcnt(0)
	s_mul_i32 s8, s24, s27
	s_mul_hi_u32 s9, s24, s26
	s_cselect_b64 s[22:23], -1, 0
	v_and_b32_e32 v2, 63, v0
	s_add_i32 s31, s9, s8
	s_mul_i32 s30, s24, s26
	v_cmp_eq_u32_e64 s[4:5], 0, v2
	v_mov_b32_e32 v3, s17
	v_add_co_u32_e32 v2, vcc, s16, v13
	s_add_u32 s8, s30, s14
	v_addc_co_u32_e32 v3, vcc, v12, v3, vcc
	s_addc_u32 s9, s31, s15
	s_lshl_b64 s[26:27], s[26:27], 8
	s_lshl_b64 s[30:31], s[30:31], 2
	;; [unrolled: 1-line block ×3, first 2 shown]
	v_mov_b32_e32 v5, s9
	v_add_co_u32_e32 v4, vcc, s8, v0
	s_add_u32 s14, s30, s14
	v_addc_co_u32_e32 v5, vcc, 0, v5, vcc
	v_lshrrev_b64 v[6:7], 8, v[2:3]
	s_addc_u32 s15, s31, s15
	v_add_co_u32_e32 v6, vcc, 1, v6
	s_add_u32 s33, s12, s14
	v_lshlrev_b64 v[4:5], 2, v[4:5]
	v_addc_co_u32_e32 v7, vcc, 0, v7, vcc
	v_lshlrev_b32_e32 v16, 2, v0
	s_addc_u32 s42, s13, s15
	v_mov_b32_e32 v9, s13
	v_add_co_u32_e32 v8, vcc, s12, v4
	v_mov_b32_e32 v4, s42
	v_add_co_u32_e64 v18, s[12:13], s33, v16
	s_mov_b64 s[8:9], 0x2100
	s_mov_b32 s10, -1
	v_addc_co_u32_e64 v19, s[12:13], 0, v4, s[12:13]
	v_addc_co_u32_e32 v9, vcc, v9, v5, vcc
	v_cmp_gt_u64_e64 s[28:29], s[8:9], v[2:3]
	s_mov_b64 s[8:9], 0x20ff
	s_brev_b32 s11, -4
	v_and_b32_e32 v12, -2, v6
	v_mov_b32_e32 v13, v7
	s_movk_i32 s12, 0x400
	v_mbcnt_lo_u32_b32 v4, -1, 0
	v_cmp_lt_u64_e64 s[8:9], s[8:9], v[2:3]
	v_lshlrev_b64 v[10:11], 2, v[2:3]
	v_cmp_lt_u64_e32 vcc, s[10:11], v[2:3]
	v_lshlrev_b64 v[2:3], 8, v[12:13]
	v_add_co_u32_e64 v20, s[12:13], s12, v18
	v_mbcnt_hi_u32_b32 v31, -1, v4
	v_cmp_gt_i32_e64 s[2:3], s16, v0
	v_lshrrev_b32_e32 v28, 4, v0
	v_cmp_eq_u32_e64 s[6:7], 0, v0
	v_and_b32_e32 v10, 0xfffffc00, v10
	v_or_b32_e32 v15, 0, v3
	v_or_b32_e32 v14, v2, v0
	;; [unrolled: 1-line block ×3, first 2 shown]
	v_mov_b32_e32 v3, v1
	v_cmp_ne_u64_e64 s[10:11], v[6:7], v[12:13]
	v_lshlrev_b32_e32 v29, 2, v0
	v_mov_b32_e32 v17, 0
	v_addc_co_u32_e64 v21, s[12:13], 0, v19, s[12:13]
	s_mov_b64 s[14:15], 0
	v_mov_b32_e32 v30, 0x2004
	v_and_b32_e32 v32, 63, v31
	s_xor_b64 s[30:31], vcc, -1
	s_movk_i32 s43, 0x200
	s_branch .LBB32_13
.LBB32_12:                              ;   in Loop: Header=BB32_13 Depth=1
	s_or_b64 exec, exec, s[34:35]
	s_add_u32 s24, s24, 64
	v_mov_b32_e32 v4, s27
	v_add_co_u32_e32 v18, vcc, s26, v18
	s_addc_u32 s25, s25, 0
	v_addc_co_u32_e32 v19, vcc, v19, v4, vcc
	s_add_u32 s14, s14, 1
	v_add_co_u32_e32 v20, vcc, s26, v20
	s_addc_u32 s15, s15, 0
	v_addc_co_u32_e32 v21, vcc, v21, v4, vcc
	v_pk_mov_b32 v[4:5], s[18:19], s[18:19] op_sel:[0,1]
	s_add_u32 s33, s33, s26
	v_cmp_ge_i64_e32 vcc, s[24:25], v[4:5]
	s_addc_u32 s42, s42, s27
	s_cbranch_vccnz .LBB32_39
.LBB32_13:                              ; =>This Loop Header: Depth=1
                                        ;     Child Loop BB32_15 Depth 2
                                        ;     Child Loop BB32_31 Depth 2
                                        ;     Child Loop BB32_38 Depth 2
	v_mov_b32_e32 v6, 0
	s_and_saveexec_b64 s[12:13], s[2:3]
	s_cbranch_execz .LBB32_17
; %bb.14:                               ;   in Loop: Header=BB32_13 Depth=1
	s_mov_b64 s[34:35], 0
	v_mov_b32_e32 v6, 0
	v_pk_mov_b32 v[4:5], v[18:19], v[18:19] op_sel:[0,1]
	v_mov_b32_e32 v7, v29
	v_mov_b32_e32 v22, v0
.LBB32_15:                              ;   Parent Loop BB32_13 Depth=1
                                        ; =>  This Inner Loop Header: Depth=2
	global_load_dword v23, v[4:5], off
	ds_read_b32 v24, v7
	v_add_co_u32_e32 v4, vcc, 0x400, v4
	v_add_u32_e32 v22, 0x100, v22
	v_addc_co_u32_e32 v5, vcc, 0, v5, vcc
	v_cmp_le_i32_e32 vcc, s16, v22
	v_add_u32_e32 v7, 0x400, v7
	s_or_b64 s[34:35], vcc, s[34:35]
	s_waitcnt vmcnt(0) lgkmcnt(0)
	v_mul_f32_e32 v23, v24, v23
	v_add_f32_e32 v6, v6, v23
	s_andn2_b64 exec, exec, s[34:35]
	s_cbranch_execnz .LBB32_15
; %bb.16:                               ;   in Loop: Header=BB32_13 Depth=1
	s_or_b64 exec, exec, s[34:35]
.LBB32_17:                              ;   in Loop: Header=BB32_13 Depth=1
	s_or_b64 exec, exec, s[12:13]
	s_and_b64 vcc, exec, s[22:23]
	s_cbranch_vccz .LBB32_24
; %bb.18:                               ;   in Loop: Header=BB32_13 Depth=1
	v_cmp_ne_u32_e32 vcc, 63, v32
	v_addc_co_u32_e32 v4, vcc, 0, v31, vcc
	v_lshlrev_b32_e32 v4, 2, v4
	ds_bpermute_b32 v4, v4, v6
	v_cmp_gt_u32_e32 vcc, 62, v32
	v_cndmask_b32_e64 v5, 0, 1, vcc
	v_lshlrev_b32_e32 v5, 1, v5
	v_add_lshl_u32 v5, v5, v31, 2
	s_waitcnt lgkmcnt(0)
	v_add_f32_e32 v4, v6, v4
	ds_bpermute_b32 v5, v5, v4
	v_cmp_gt_u32_e32 vcc, 60, v32
	v_cndmask_b32_e64 v7, 0, 1, vcc
	v_cmp_gt_u32_e32 vcc, 56, v32
	s_waitcnt lgkmcnt(0)
	v_add_f32_e32 v4, v4, v5
	v_lshlrev_b32_e32 v5, 2, v7
	v_add_lshl_u32 v5, v5, v31, 2
	ds_bpermute_b32 v5, v5, v4
	v_cndmask_b32_e64 v7, 0, 1, vcc
	v_cmp_gt_u32_e32 vcc, 48, v32
	s_waitcnt lgkmcnt(0)
	v_add_f32_e32 v4, v4, v5
	v_lshlrev_b32_e32 v5, 3, v7
	v_add_lshl_u32 v5, v5, v31, 2
	ds_bpermute_b32 v5, v5, v4
	;; [unrolled: 7-line block ×3, first 2 shown]
	v_cndmask_b32_e64 v7, 0, 1, vcc
	s_waitcnt lgkmcnt(0)
	v_add_f32_e32 v4, v4, v5
	v_lshlrev_b32_e32 v5, 5, v7
	v_add_lshl_u32 v5, v5, v31, 2
	ds_bpermute_b32 v5, v5, v4
	s_waitcnt lgkmcnt(0)
	v_add_f32_e32 v5, v4, v5
	s_and_saveexec_b64 s[12:13], s[4:5]
	s_cbranch_execz .LBB32_20
; %bb.19:                               ;   in Loop: Header=BB32_13 Depth=1
	ds_write_b32 v28, v5 offset:8192
.LBB32_20:                              ;   in Loop: Header=BB32_13 Depth=1
	s_or_b64 exec, exec, s[12:13]
	s_mov_b64 s[34:35], 0
	s_mov_b64 s[12:13], 0
	s_waitcnt lgkmcnt(0)
	s_barrier
	s_waitcnt lgkmcnt(0)
                                        ; implicit-def: $vgpr4
	s_and_saveexec_b64 s[36:37], s[6:7]
	s_xor_b64 s[36:37], exec, s[36:37]
	s_cbranch_execz .LBB32_22
; %bb.21:                               ;   in Loop: Header=BB32_13 Depth=1
	ds_read2_b32 v[22:23], v30 offset1:1
	ds_read_b32 v4, v17 offset:8204
	s_mov_b64 s[12:13], exec
	s_waitcnt lgkmcnt(1)
	v_add_f32_e32 v5, v5, v22
	v_add_f32_e32 v5, v5, v23
	s_waitcnt lgkmcnt(0)
	v_add_f32_e32 v4, v5, v4
.LBB32_22:                              ;   in Loop: Header=BB32_13 Depth=1
	s_or_b64 exec, exec, s[36:37]
	s_and_b64 vcc, exec, s[34:35]
	s_cbranch_vccnz .LBB32_25
.LBB32_23:                              ;   in Loop: Header=BB32_13 Depth=1
	v_mov_b32_e32 v6, v4
	s_and_saveexec_b64 s[34:35], s[12:13]
	s_cbranch_execnz .LBB32_26
	s_branch .LBB32_27
.LBB32_24:                              ;   in Loop: Header=BB32_13 Depth=1
	s_mov_b64 s[12:13], 0
                                        ; implicit-def: $vgpr4
	s_cbranch_execz .LBB32_23
.LBB32_25:                              ;   in Loop: Header=BB32_13 Depth=1
	s_andn2_b64 s[12:13], s[12:13], exec
	s_and_b64 s[34:35], s[6:7], exec
	s_or_b64 s[12:13], s[12:13], s[34:35]
	s_and_saveexec_b64 s[34:35], s[12:13]
	s_cbranch_execz .LBB32_27
.LBB32_26:                              ;   in Loop: Header=BB32_13 Depth=1
	ds_write_b32 v17, v6 offset:8192
.LBB32_27:                              ;   in Loop: Header=BB32_13 Depth=1
	s_or_b64 exec, exec, s[34:35]
	s_waitcnt lgkmcnt(0)
	s_barrier
	s_and_saveexec_b64 s[34:35], s[0:1]
	s_cbranch_execz .LBB32_12
; %bb.28:                               ;   in Loop: Header=BB32_13 Depth=1
	global_load_dword v6, v17, s[20:21]
	ds_read_b32 v7, v17 offset:8192
	s_mov_b64 s[12:13], s[28:29]
	v_pk_mov_b32 v[4:5], v[0:1], v[0:1] op_sel:[0,1]
	s_waitcnt vmcnt(0) lgkmcnt(0)
	v_mul_f32_e64 v22, v7, -v6
	v_pk_mov_b32 v[6:7], v[16:17], v[16:17] op_sel:[0,1]
	s_and_saveexec_b64 s[36:37], s[8:9]
	s_cbranch_execz .LBB32_36
; %bb.29:                               ;   in Loop: Header=BB32_13 Depth=1
	s_mul_i32 s12, s27, s14
	s_mul_i32 s13, s26, s15
	v_mov_b32_e32 v4, s14
	s_add_i32 s38, s13, s12
	v_mad_u64_u32 v[4:5], s[12:13], s26, v4, v[8:9]
	v_add_u32_e32 v5, s38, v5
	v_add_co_u32_e32 v6, vcc, v4, v10
	v_addc_co_u32_e32 v7, vcc, v5, v11, vcc
	v_cmp_ge_u64_e32 vcc, v[6:7], v[4:5]
	s_mov_b64 s[12:13], -1
	s_and_b64 s[40:41], vcc, s[30:31]
	v_pk_mov_b32 v[4:5], v[0:1], v[0:1] op_sel:[0,1]
	v_pk_mov_b32 v[6:7], v[16:17], v[16:17] op_sel:[0,1]
	s_and_saveexec_b64 s[38:39], s[40:41]
	s_cbranch_execz .LBB32_35
; %bb.30:                               ;   in Loop: Header=BB32_13 Depth=1
	v_pk_mov_b32 v[6:7], v[2:3], v[2:3] op_sel:[0,1]
	v_mov_b32_e32 v23, v22
	s_mov_b64 s[40:41], 0
	v_pk_mov_b32 v[24:25], v[12:13], v[12:13] op_sel:[0,1]
	v_pk_mov_b32 v[26:27], v[20:21], v[20:21] op_sel:[0,1]
	;; [unrolled: 1-line block ×3, first 2 shown]
.LBB32_31:                              ;   Parent Loop BB32_13 Depth=1
                                        ; =>  This Inner Loop Header: Depth=2
	global_load_dword v34, v[26:27], off offset:-1024
	global_load_dword v35, v[26:27], off
	v_lshlrev_b32_e32 v33, 2, v4
	v_lshlrev_b32_e32 v37, 2, v6
	ds_read_b32 v36, v33
	ds_read_b32 v37, v37
	v_add_co_u32_e32 v6, vcc, s43, v6
	v_addc_co_u32_e32 v7, vcc, 0, v7, vcc
	v_add_co_u32_e64 v24, s[12:13], -2, v24
	v_add_co_u32_e32 v4, vcc, s43, v4
	v_addc_co_u32_e64 v25, s[12:13], -1, v25, s[12:13]
	v_addc_co_u32_e32 v5, vcc, 0, v5, vcc
	v_cmp_eq_u64_e64 s[12:13], 0, v[24:25]
	s_or_b64 s[40:41], s[12:13], s[40:41]
	s_waitcnt vmcnt(0) lgkmcnt(0)
	v_pk_fma_f32 v[34:35], v[22:23], v[36:37], v[34:35]
	global_store_dword v[26:27], v34, off offset:-1024
	global_store_dword v[26:27], v35, off
	v_add_co_u32_e32 v26, vcc, 0x800, v26
	v_addc_co_u32_e32 v27, vcc, 0, v27, vcc
	s_andn2_b64 exec, exec, s[40:41]
	s_cbranch_execnz .LBB32_31
; %bb.32:                               ;   in Loop: Header=BB32_13 Depth=1
	s_or_b64 exec, exec, s[40:41]
	s_mov_b64 s[12:13], 0
                                        ; implicit-def: $vgpr6_vgpr7
	s_and_saveexec_b64 s[40:41], s[10:11]
	s_xor_b64 s[40:41], exec, s[40:41]
; %bb.33:                               ;   in Loop: Header=BB32_13 Depth=1
	s_mov_b64 s[12:13], exec
	v_lshlrev_b64 v[6:7], 2, v[14:15]
; %bb.34:                               ;   in Loop: Header=BB32_13 Depth=1
	s_or_b64 exec, exec, s[40:41]
	s_orn2_b64 s[12:13], s[12:13], exec
	v_pk_mov_b32 v[4:5], v[14:15], v[14:15] op_sel:[0,1]
.LBB32_35:                              ;   in Loop: Header=BB32_13 Depth=1
	s_or_b64 exec, exec, s[38:39]
	s_andn2_b64 s[38:39], s[28:29], exec
	s_and_b64 s[12:13], s[12:13], exec
	s_or_b64 s[12:13], s[38:39], s[12:13]
.LBB32_36:                              ;   in Loop: Header=BB32_13 Depth=1
	s_or_b64 exec, exec, s[36:37]
	s_and_b64 exec, exec, s[12:13]
	s_cbranch_execz .LBB32_12
; %bb.37:                               ;   in Loop: Header=BB32_13 Depth=1
	v_mov_b32_e32 v24, s42
	v_add_co_u32_e32 v6, vcc, s33, v6
	v_lshlrev_b32_e32 v23, 2, v4
	v_addc_co_u32_e32 v7, vcc, v24, v7, vcc
	s_mov_b64 s[12:13], 0
.LBB32_38:                              ;   Parent Loop BB32_13 Depth=1
                                        ; =>  This Inner Loop Header: Depth=2
	global_load_dword v24, v[6:7], off
	ds_read_b32 v25, v23
	v_add_co_u32_e32 v4, vcc, 0x100, v4
	v_addc_co_u32_e32 v5, vcc, 0, v5, vcc
	v_cmp_le_i64_e32 vcc, s[16:17], v[4:5]
	s_or_b64 s[12:13], vcc, s[12:13]
	v_add_u32_e32 v23, 0x400, v23
	s_waitcnt vmcnt(0) lgkmcnt(0)
	v_fmac_f32_e32 v24, v22, v25
	global_store_dword v[6:7], v24, off
	v_add_co_u32_e32 v6, vcc, 0x400, v6
	v_addc_co_u32_e32 v7, vcc, 0, v7, vcc
	s_andn2_b64 exec, exec, s[12:13]
	s_cbranch_execnz .LBB32_38
	s_branch .LBB32_12
.LBB32_39:
	s_endpgm
	.section	.rodata,"a",@progbits
	.p2align	6, 0x0
	.amdhsa_kernel _ZN9rocsolver6v33100L22larf_left_kernel_smallILi256EflPKPfEEvT1_S5_T2_lS5_lPKT0_lS6_lS5_l
		.amdhsa_group_segment_fixed_size 9216
		.amdhsa_private_segment_fixed_size 0
		.amdhsa_kernarg_size 96
		.amdhsa_user_sgpr_count 6
		.amdhsa_user_sgpr_private_segment_buffer 1
		.amdhsa_user_sgpr_dispatch_ptr 0
		.amdhsa_user_sgpr_queue_ptr 0
		.amdhsa_user_sgpr_kernarg_segment_ptr 1
		.amdhsa_user_sgpr_dispatch_id 0
		.amdhsa_user_sgpr_flat_scratch_init 0
		.amdhsa_user_sgpr_kernarg_preload_length 0
		.amdhsa_user_sgpr_kernarg_preload_offset 0
		.amdhsa_user_sgpr_private_segment_size 0
		.amdhsa_uses_dynamic_stack 0
		.amdhsa_system_sgpr_private_segment_wavefront_offset 0
		.amdhsa_system_sgpr_workgroup_id_x 1
		.amdhsa_system_sgpr_workgroup_id_y 1
		.amdhsa_system_sgpr_workgroup_id_z 0
		.amdhsa_system_sgpr_workgroup_info 0
		.amdhsa_system_vgpr_workitem_id 0
		.amdhsa_next_free_vgpr 38
		.amdhsa_next_free_sgpr 44
		.amdhsa_accum_offset 40
		.amdhsa_reserve_vcc 1
		.amdhsa_reserve_flat_scratch 0
		.amdhsa_float_round_mode_32 0
		.amdhsa_float_round_mode_16_64 0
		.amdhsa_float_denorm_mode_32 3
		.amdhsa_float_denorm_mode_16_64 3
		.amdhsa_dx10_clamp 1
		.amdhsa_ieee_mode 1
		.amdhsa_fp16_overflow 0
		.amdhsa_tg_split 0
		.amdhsa_exception_fp_ieee_invalid_op 0
		.amdhsa_exception_fp_denorm_src 0
		.amdhsa_exception_fp_ieee_div_zero 0
		.amdhsa_exception_fp_ieee_overflow 0
		.amdhsa_exception_fp_ieee_underflow 0
		.amdhsa_exception_fp_ieee_inexact 0
		.amdhsa_exception_int_div_zero 0
	.end_amdhsa_kernel
	.section	.text._ZN9rocsolver6v33100L22larf_left_kernel_smallILi256EflPKPfEEvT1_S5_T2_lS5_lPKT0_lS6_lS5_l,"axG",@progbits,_ZN9rocsolver6v33100L22larf_left_kernel_smallILi256EflPKPfEEvT1_S5_T2_lS5_lPKT0_lS6_lS5_l,comdat
.Lfunc_end32:
	.size	_ZN9rocsolver6v33100L22larf_left_kernel_smallILi256EflPKPfEEvT1_S5_T2_lS5_lPKT0_lS6_lS5_l, .Lfunc_end32-_ZN9rocsolver6v33100L22larf_left_kernel_smallILi256EflPKPfEEvT1_S5_T2_lS5_lPKT0_lS6_lS5_l
                                        ; -- End function
	.section	.AMDGPU.csdata,"",@progbits
; Kernel info:
; codeLenInByte = 2208
; NumSgprs: 48
; NumVgprs: 38
; NumAgprs: 0
; TotalNumVgprs: 38
; ScratchSize: 0
; MemoryBound: 0
; FloatMode: 240
; IeeeMode: 1
; LDSByteSize: 9216 bytes/workgroup (compile time only)
; SGPRBlocks: 5
; VGPRBlocks: 4
; NumSGPRsForWavesPerEU: 48
; NumVGPRsForWavesPerEU: 38
; AccumOffset: 40
; Occupancy: 7
; WaveLimiterHint : 1
; COMPUTE_PGM_RSRC2:SCRATCH_EN: 0
; COMPUTE_PGM_RSRC2:USER_SGPR: 6
; COMPUTE_PGM_RSRC2:TRAP_HANDLER: 0
; COMPUTE_PGM_RSRC2:TGID_X_EN: 1
; COMPUTE_PGM_RSRC2:TGID_Y_EN: 1
; COMPUTE_PGM_RSRC2:TGID_Z_EN: 0
; COMPUTE_PGM_RSRC2:TIDIG_COMP_CNT: 0
; COMPUTE_PGM_RSRC3_GFX90A:ACCUM_OFFSET: 9
; COMPUTE_PGM_RSRC3_GFX90A:TG_SPLIT: 0
	.section	.text._ZN9rocsolver6v33100L22larf_left_kernel_smallILi512EflPKPfEEvT1_S5_T2_lS5_lPKT0_lS6_lS5_l,"axG",@progbits,_ZN9rocsolver6v33100L22larf_left_kernel_smallILi512EflPKPfEEvT1_S5_T2_lS5_lPKT0_lS6_lS5_l,comdat
	.globl	_ZN9rocsolver6v33100L22larf_left_kernel_smallILi512EflPKPfEEvT1_S5_T2_lS5_lPKT0_lS6_lS5_l ; -- Begin function _ZN9rocsolver6v33100L22larf_left_kernel_smallILi512EflPKPfEEvT1_S5_T2_lS5_lPKT0_lS6_lS5_l
	.p2align	8
	.type	_ZN9rocsolver6v33100L22larf_left_kernel_smallILi512EflPKPfEEvT1_S5_T2_lS5_lPKT0_lS6_lS5_l,@function
_ZN9rocsolver6v33100L22larf_left_kernel_smallILi512EflPKPfEEvT1_S5_T2_lS5_lPKT0_lS6_lS5_l: ; @_ZN9rocsolver6v33100L22larf_left_kernel_smallILi512EflPKPfEEvT1_S5_T2_lS5_lPKT0_lS6_lS5_l
; %bb.0:
	s_load_dwordx8 s[16:23], s[4:5], 0x0
	s_load_dwordx2 s[26:27], s[4:5], 0x20
	s_load_dwordx8 s[8:15], s[4:5], 0x30
	s_mov_b32 s24, s7
	s_mov_b32 s7, 0
	s_lshl_b64 s[0:1], s[6:7], 3
	s_waitcnt lgkmcnt(0)
	s_add_u32 s2, s20, s0
	s_addc_u32 s3, s21, s1
	s_add_u32 s0, s12, s0
	s_addc_u32 s1, s13, s1
	v_cmp_gt_i64_e64 s[12:13], s[26:27], 0
	s_mov_b64 s[28:29], 0
	s_and_b64 vcc, exec, s[12:13]
	s_cbranch_vccnz .LBB33_2
; %bb.1:
	s_sub_u32 s7, 1, s16
	s_subb_u32 s12, 0, s17
	s_mul_i32 s13, s7, s27
	s_mul_hi_u32 s20, s7, s26
	s_add_i32 s13, s20, s13
	s_mul_i32 s12, s12, s26
	s_add_i32 s29, s13, s12
	s_mul_i32 s28, s7, s26
.LBB33_2:
	s_load_dwordx2 s[12:13], s[0:1], 0x0
	v_mov_b32_e32 v1, 0
	v_cmp_gt_i64_e64 s[0:1], s[16:17], v[0:1]
	v_not_b32_e32 v12, 0
	v_not_b32_e32 v13, v0
	s_and_saveexec_b64 s[20:21], s[0:1]
	s_cbranch_execz .LBB33_10
; %bb.3:
	s_load_dwordx2 s[30:31], s[2:3], 0x0
	v_mov_b32_e32 v2, s17
	v_add_co_u32_e32 v4, vcc, s16, v13
	v_addc_co_u32_e32 v5, vcc, v12, v2, vcc
	s_mov_b64 s[2:3], 0x1ff
	v_cmp_lt_u64_e32 vcc, s[2:3], v[4:5]
	s_mov_b64 s[2:3], -1
	v_pk_mov_b32 v[2:3], v[0:1], v[0:1] op_sel:[0,1]
	s_and_saveexec_b64 s[34:35], vcc
	s_cbranch_execz .LBB33_7
; %bb.4:
	s_lshl_b64 s[2:3], s[22:23], 2
	s_waitcnt lgkmcnt(0)
	s_add_u32 s7, s30, s2
	v_lshrrev_b64 v[2:3], 9, v[4:5]
	s_addc_u32 s25, s31, s3
	s_lshl_b64 s[2:3], s[28:29], 2
	v_add_co_u32_e32 v6, vcc, 1, v2
	s_add_u32 s7, s7, s2
	v_addc_co_u32_e32 v7, vcc, 0, v3, vcc
	v_or_b32_e32 v2, 0x200, v0
	v_mov_b32_e32 v3, v1
	s_addc_u32 s2, s25, s3
	v_and_b32_e32 v8, -2, v6
	v_mov_b32_e32 v9, v7
	v_pk_mov_b32 v[4:5], v[2:3], v[2:3] op_sel:[0,1]
	s_mov_b32 s25, s26
	s_mov_b32 s33, s27
	s_mov_b64 s[36:37], 0
	v_mov_b32_e32 v14, s2
	s_movk_i32 s38, 0x400
	v_pk_mov_b32 v[10:11], v[8:9], v[8:9] op_sel:[0,1]
	v_pk_mov_b32 v[2:3], v[0:1], v[0:1] op_sel:[0,1]
.LBB33_5:                               ; =>This Inner Loop Header: Depth=1
	v_mul_lo_u32 v21, v3, s26
	v_mul_lo_u32 v22, v2, s27
	v_mad_u64_u32 v[18:19], s[2:3], v2, s26, 0
	v_add3_u32 v19, v19, v22, v21
	v_mul_lo_u32 v15, v5, s25
	v_mul_lo_u32 v20, v4, s33
	v_mad_u64_u32 v[16:17], s[2:3], v4, s25, 0
	v_lshlrev_b64 v[18:19], 2, v[18:19]
	v_add3_u32 v17, v17, v20, v15
	v_add_co_u32_e32 v18, vcc, s7, v18
	v_lshlrev_b64 v[16:17], 2, v[16:17]
	v_addc_co_u32_e32 v19, vcc, v14, v19, vcc
	v_add_co_u32_e32 v16, vcc, s7, v16
	v_addc_co_u32_e32 v17, vcc, v14, v17, vcc
	global_load_dword v15, v[18:19], off
	global_load_dword v20, v[16:17], off
	v_lshlrev_b32_e32 v17, 2, v4
	v_add_co_u32_e32 v4, vcc, s38, v4
	v_add_co_u32_e64 v10, s[2:3], -2, v10
	v_addc_co_u32_e64 v11, s[2:3], -1, v11, s[2:3]
	v_addc_co_u32_e32 v5, vcc, 0, v5, vcc
	v_lshlrev_b32_e32 v16, 2, v2
	v_add_co_u32_e32 v2, vcc, 0x400, v2
	v_cmp_eq_u64_e64 s[2:3], 0, v[10:11]
	v_addc_co_u32_e32 v3, vcc, 0, v3, vcc
	s_or_b64 s[36:37], s[2:3], s[36:37]
	s_waitcnt vmcnt(1)
	ds_write_b32 v16, v15
	s_waitcnt vmcnt(0)
	ds_write_b32 v17, v20
	s_andn2_b64 exec, exec, s[36:37]
	s_cbranch_execnz .LBB33_5
; %bb.6:
	s_or_b64 exec, exec, s[36:37]
	v_lshlrev_b64 v[2:3], 9, v[8:9]
	v_cmp_ne_u64_e32 vcc, v[6:7], v[8:9]
	v_or_b32_e32 v3, 0, v3
	v_or_b32_e32 v2, v2, v0
	s_orn2_b64 s[2:3], vcc, exec
.LBB33_7:
	s_or_b64 exec, exec, s[34:35]
	s_and_b64 exec, exec, s[2:3]
	s_cbranch_execz .LBB33_10
; %bb.8:
	v_mad_u64_u32 v[4:5], s[2:3], v2, s26, 0
	s_lshl_b64 s[2:3], s[28:29], 2
	s_lshl_b64 s[22:23], s[22:23], 2
	s_waitcnt lgkmcnt(0)
	s_add_u32 s7, s30, s22
	v_mul_lo_u32 v6, v3, s26
	v_mul_lo_u32 v7, v2, s27
	s_addc_u32 s22, s31, s23
	v_add3_u32 v5, v5, v7, v6
	s_add_u32 s2, s7, s2
	v_lshlrev_b64 v[4:5], 2, v[4:5]
	s_addc_u32 s3, s22, s3
	v_mov_b32_e32 v6, s3
	v_add_co_u32_e32 v4, vcc, s2, v4
	s_lshl_b64 s[22:23], s[26:27], 11
	v_addc_co_u32_e32 v5, vcc, v6, v5, vcc
	v_lshlrev_b32_e32 v6, 2, v2
	s_mov_b64 s[26:27], 0
	v_mov_b32_e32 v7, s23
.LBB33_9:                               ; =>This Inner Loop Header: Depth=1
	global_load_dword v8, v[4:5], off
	v_add_co_u32_e32 v2, vcc, 0x200, v2
	v_addc_co_u32_e32 v3, vcc, 0, v3, vcc
	v_add_co_u32_e64 v4, s[2:3], s22, v4
	v_cmp_le_i64_e32 vcc, s[16:17], v[2:3]
	v_addc_co_u32_e64 v5, s[2:3], v5, v7, s[2:3]
	s_or_b64 s[26:27], vcc, s[26:27]
	s_waitcnt vmcnt(0)
	ds_write_b32 v6, v8
	v_add_u32_e32 v6, 0x800, v6
	s_andn2_b64 exec, exec, s[26:27]
	s_cbranch_execnz .LBB33_9
.LBB33_10:
	s_or_b64 exec, exec, s[20:21]
	s_mov_b32 s25, 0
	v_pk_mov_b32 v[2:3], s[18:19], s[18:19] op_sel:[0,1]
	v_cmp_ge_i64_e32 vcc, s[24:25], v[2:3]
	s_waitcnt lgkmcnt(0)
	s_barrier
	s_cbranch_vccnz .LBB33_39
; %bb.11:
	s_load_dwordx2 s[26:27], s[4:5], 0x50
	s_mul_i32 s2, s6, s11
	s_mul_hi_u32 s3, s6, s10
	s_add_i32 s3, s3, s2
	s_mul_i32 s2, s6, s10
	s_lshl_b64 s[2:3], s[2:3], 2
	s_add_u32 s20, s8, s2
	s_addc_u32 s21, s9, s3
	s_cmp_gt_i32 s16, 1
	s_waitcnt lgkmcnt(0)
	s_mul_i32 s8, s24, s27
	s_mul_hi_u32 s9, s24, s26
	s_cselect_b64 s[22:23], -1, 0
	v_and_b32_e32 v2, 63, v0
	s_add_i32 s31, s9, s8
	s_mul_i32 s30, s24, s26
	v_cmp_eq_u32_e64 s[4:5], 0, v2
	v_mov_b32_e32 v3, s17
	v_add_co_u32_e32 v2, vcc, s16, v13
	s_add_u32 s8, s30, s14
	v_addc_co_u32_e32 v3, vcc, v12, v3, vcc
	s_addc_u32 s9, s31, s15
	s_lshl_b64 s[26:27], s[26:27], 8
	s_lshl_b64 s[30:31], s[30:31], 2
	;; [unrolled: 1-line block ×3, first 2 shown]
	v_mov_b32_e32 v5, s9
	v_add_co_u32_e32 v4, vcc, s8, v0
	s_add_u32 s14, s30, s14
	v_addc_co_u32_e32 v5, vcc, 0, v5, vcc
	v_lshrrev_b64 v[6:7], 9, v[2:3]
	s_addc_u32 s15, s31, s15
	v_add_co_u32_e32 v6, vcc, 1, v6
	s_add_u32 s33, s12, s14
	v_lshlrev_b64 v[4:5], 2, v[4:5]
	v_addc_co_u32_e32 v7, vcc, 0, v7, vcc
	v_lshlrev_b32_e32 v16, 2, v0
	s_addc_u32 s42, s13, s15
	v_mov_b32_e32 v9, s13
	v_add_co_u32_e32 v8, vcc, s12, v4
	v_mov_b32_e32 v4, s42
	v_add_co_u32_e64 v18, s[12:13], s33, v16
	s_mov_b64 s[8:9], 0x4200
	s_mov_b32 s10, -1
	v_addc_co_u32_e64 v19, s[12:13], 0, v4, s[12:13]
	v_addc_co_u32_e32 v9, vcc, v9, v5, vcc
	v_cmp_gt_u64_e64 s[28:29], s[8:9], v[2:3]
	s_mov_b64 s[8:9], 0x41ff
	s_brev_b32 s11, -4
	v_and_b32_e32 v12, -2, v6
	v_mov_b32_e32 v13, v7
	s_movk_i32 s12, 0x800
	v_cmp_lt_u64_e64 s[8:9], s[8:9], v[2:3]
	v_lshlrev_b64 v[10:11], 2, v[2:3]
	v_cmp_lt_u64_e32 vcc, s[10:11], v[2:3]
	v_lshlrev_b64 v[2:3], 9, v[12:13]
	v_add_co_u32_e64 v20, s[12:13], s12, v18
	v_mbcnt_lo_u32_b32 v4, -1, 0
	v_cmp_gt_i32_e64 s[2:3], s16, v0
	v_lshrrev_b32_e32 v28, 4, v0
	v_cmp_eq_u32_e64 s[6:7], 0, v0
	v_and_b32_e32 v10, 0xfffff800, v10
	v_or_b32_e32 v15, 0, v3
	v_or_b32_e32 v14, v2, v0
	;; [unrolled: 1-line block ×3, first 2 shown]
	v_mov_b32_e32 v3, v1
	v_cmp_ne_u64_e64 s[10:11], v[6:7], v[12:13]
	v_lshlrev_b32_e32 v29, 2, v0
	v_mov_b32_e32 v17, 0
	v_addc_co_u32_e64 v21, s[12:13], 0, v19, s[12:13]
	s_mov_b64 s[14:15], 0
	v_mov_b32_e32 v30, 0x2004
	v_mov_b32_e32 v31, 0x200c
	;; [unrolled: 1-line block ×3, first 2 shown]
	v_mbcnt_hi_u32_b32 v33, -1, v4
	s_xor_b64 s[30:31], vcc, -1
	s_movk_i32 s43, 0x400
	s_branch .LBB33_13
.LBB33_12:                              ;   in Loop: Header=BB33_13 Depth=1
	s_or_b64 exec, exec, s[34:35]
	s_add_u32 s24, s24, 64
	v_mov_b32_e32 v4, s27
	v_add_co_u32_e32 v18, vcc, s26, v18
	s_addc_u32 s25, s25, 0
	v_addc_co_u32_e32 v19, vcc, v19, v4, vcc
	s_add_u32 s14, s14, 1
	v_add_co_u32_e32 v20, vcc, s26, v20
	s_addc_u32 s15, s15, 0
	v_addc_co_u32_e32 v21, vcc, v21, v4, vcc
	v_pk_mov_b32 v[4:5], s[18:19], s[18:19] op_sel:[0,1]
	s_add_u32 s33, s33, s26
	v_cmp_ge_i64_e32 vcc, s[24:25], v[4:5]
	s_addc_u32 s42, s42, s27
	s_cbranch_vccnz .LBB33_39
.LBB33_13:                              ; =>This Loop Header: Depth=1
                                        ;     Child Loop BB33_15 Depth 2
                                        ;     Child Loop BB33_31 Depth 2
                                        ;     Child Loop BB33_38 Depth 2
	v_mov_b32_e32 v6, 0
	s_and_saveexec_b64 s[12:13], s[2:3]
	s_cbranch_execz .LBB33_17
; %bb.14:                               ;   in Loop: Header=BB33_13 Depth=1
	s_mov_b64 s[34:35], 0
	v_mov_b32_e32 v6, 0
	v_pk_mov_b32 v[4:5], v[18:19], v[18:19] op_sel:[0,1]
	v_mov_b32_e32 v7, v29
	v_mov_b32_e32 v22, v0
.LBB33_15:                              ;   Parent Loop BB33_13 Depth=1
                                        ; =>  This Inner Loop Header: Depth=2
	global_load_dword v23, v[4:5], off
	ds_read_b32 v24, v7
	v_add_co_u32_e32 v4, vcc, 0x800, v4
	v_add_u32_e32 v22, 0x200, v22
	v_addc_co_u32_e32 v5, vcc, 0, v5, vcc
	v_cmp_le_i32_e32 vcc, s16, v22
	v_add_u32_e32 v7, 0x800, v7
	s_or_b64 s[34:35], vcc, s[34:35]
	s_waitcnt vmcnt(0) lgkmcnt(0)
	v_mul_f32_e32 v23, v24, v23
	v_add_f32_e32 v6, v6, v23
	s_andn2_b64 exec, exec, s[34:35]
	s_cbranch_execnz .LBB33_15
; %bb.16:                               ;   in Loop: Header=BB33_13 Depth=1
	s_or_b64 exec, exec, s[34:35]
.LBB33_17:                              ;   in Loop: Header=BB33_13 Depth=1
	s_or_b64 exec, exec, s[12:13]
	s_and_b64 vcc, exec, s[22:23]
	s_cbranch_vccz .LBB33_24
; %bb.18:                               ;   in Loop: Header=BB33_13 Depth=1
	v_and_b32_e32 v4, 63, v33
	v_cmp_ne_u32_e32 vcc, 63, v4
	v_addc_co_u32_e32 v5, vcc, 0, v33, vcc
	v_lshlrev_b32_e32 v5, 2, v5
	ds_bpermute_b32 v5, v5, v6
	v_cmp_gt_u32_e32 vcc, 62, v4
	v_cndmask_b32_e64 v7, 0, 1, vcc
	v_lshlrev_b32_e32 v7, 1, v7
	v_add_lshl_u32 v7, v7, v33, 2
	s_waitcnt lgkmcnt(0)
	v_add_f32_e32 v5, v6, v5
	ds_bpermute_b32 v7, v7, v5
	v_cmp_gt_u32_e32 vcc, 60, v4
	v_cndmask_b32_e64 v22, 0, 1, vcc
	v_cmp_gt_u32_e32 vcc, 56, v4
	s_waitcnt lgkmcnt(0)
	v_add_f32_e32 v5, v5, v7
	v_lshlrev_b32_e32 v7, 2, v22
	v_add_lshl_u32 v7, v7, v33, 2
	ds_bpermute_b32 v7, v7, v5
	v_cndmask_b32_e64 v22, 0, 1, vcc
	v_cmp_gt_u32_e32 vcc, 48, v4
	s_waitcnt lgkmcnt(0)
	v_add_f32_e32 v5, v5, v7
	v_lshlrev_b32_e32 v7, 3, v22
	v_add_lshl_u32 v7, v7, v33, 2
	ds_bpermute_b32 v7, v7, v5
	v_cndmask_b32_e64 v22, 0, 1, vcc
	v_cmp_gt_u32_e32 vcc, 32, v4
	v_cndmask_b32_e64 v4, 0, 1, vcc
	v_lshlrev_b32_e32 v4, 5, v4
	s_waitcnt lgkmcnt(0)
	v_add_f32_e32 v5, v5, v7
	v_lshlrev_b32_e32 v7, 4, v22
	v_add_lshl_u32 v7, v7, v33, 2
	ds_bpermute_b32 v7, v7, v5
	v_add_lshl_u32 v4, v4, v33, 2
	s_waitcnt lgkmcnt(0)
	v_add_f32_e32 v5, v5, v7
	ds_bpermute_b32 v4, v4, v5
	s_waitcnt lgkmcnt(0)
	v_add_f32_e32 v4, v5, v4
	s_and_saveexec_b64 s[12:13], s[4:5]
	s_cbranch_execz .LBB33_20
; %bb.19:                               ;   in Loop: Header=BB33_13 Depth=1
	ds_write_b32 v28, v4 offset:8192
.LBB33_20:                              ;   in Loop: Header=BB33_13 Depth=1
	s_or_b64 exec, exec, s[12:13]
	s_mov_b64 s[34:35], 0
	s_mov_b64 s[12:13], 0
	s_waitcnt lgkmcnt(0)
	s_barrier
	s_waitcnt lgkmcnt(0)
                                        ; implicit-def: $vgpr5
	s_and_saveexec_b64 s[36:37], s[6:7]
	s_xor_b64 s[36:37], exec, s[36:37]
	s_cbranch_execz .LBB33_22
; %bb.21:                               ;   in Loop: Header=BB33_13 Depth=1
	ds_read2_b32 v[22:23], v30 offset1:1
	ds_read2_b32 v[24:25], v31 offset1:1
	;; [unrolled: 1-line block ×3, first 2 shown]
	ds_read_b32 v5, v17 offset:8220
	s_mov_b64 s[12:13], exec
	s_waitcnt lgkmcnt(3)
	v_add_f32_e32 v4, v4, v22
	v_add_f32_e32 v4, v4, v23
	s_waitcnt lgkmcnt(2)
	v_add_f32_e32 v4, v4, v24
	v_add_f32_e32 v4, v4, v25
	;; [unrolled: 3-line block ×3, first 2 shown]
	s_waitcnt lgkmcnt(0)
	v_add_f32_e32 v5, v4, v5
.LBB33_22:                              ;   in Loop: Header=BB33_13 Depth=1
	s_or_b64 exec, exec, s[36:37]
	s_and_b64 vcc, exec, s[34:35]
	s_cbranch_vccnz .LBB33_25
.LBB33_23:                              ;   in Loop: Header=BB33_13 Depth=1
	v_mov_b32_e32 v6, v5
	s_and_saveexec_b64 s[34:35], s[12:13]
	s_cbranch_execnz .LBB33_26
	s_branch .LBB33_27
.LBB33_24:                              ;   in Loop: Header=BB33_13 Depth=1
	s_mov_b64 s[12:13], 0
                                        ; implicit-def: $vgpr5
	s_cbranch_execz .LBB33_23
.LBB33_25:                              ;   in Loop: Header=BB33_13 Depth=1
	s_andn2_b64 s[12:13], s[12:13], exec
	s_and_b64 s[34:35], s[6:7], exec
	s_or_b64 s[12:13], s[12:13], s[34:35]
	s_and_saveexec_b64 s[34:35], s[12:13]
	s_cbranch_execz .LBB33_27
.LBB33_26:                              ;   in Loop: Header=BB33_13 Depth=1
	ds_write_b32 v17, v6 offset:8192
.LBB33_27:                              ;   in Loop: Header=BB33_13 Depth=1
	s_or_b64 exec, exec, s[34:35]
	s_waitcnt lgkmcnt(0)
	s_barrier
	s_and_saveexec_b64 s[34:35], s[0:1]
	s_cbranch_execz .LBB33_12
; %bb.28:                               ;   in Loop: Header=BB33_13 Depth=1
	global_load_dword v6, v17, s[20:21]
	ds_read_b32 v7, v17 offset:8192
	s_mov_b64 s[12:13], s[28:29]
	v_pk_mov_b32 v[4:5], v[0:1], v[0:1] op_sel:[0,1]
	s_waitcnt vmcnt(0) lgkmcnt(0)
	v_mul_f32_e64 v22, v7, -v6
	v_pk_mov_b32 v[6:7], v[16:17], v[16:17] op_sel:[0,1]
	s_and_saveexec_b64 s[36:37], s[8:9]
	s_cbranch_execz .LBB33_36
; %bb.29:                               ;   in Loop: Header=BB33_13 Depth=1
	s_mul_i32 s12, s27, s14
	s_mul_i32 s13, s26, s15
	v_mov_b32_e32 v4, s14
	s_add_i32 s38, s13, s12
	v_mad_u64_u32 v[4:5], s[12:13], s26, v4, v[8:9]
	v_add_u32_e32 v5, s38, v5
	v_add_co_u32_e32 v6, vcc, v4, v10
	v_addc_co_u32_e32 v7, vcc, v5, v11, vcc
	v_cmp_ge_u64_e32 vcc, v[6:7], v[4:5]
	s_mov_b64 s[12:13], -1
	s_and_b64 s[40:41], vcc, s[30:31]
	v_pk_mov_b32 v[4:5], v[0:1], v[0:1] op_sel:[0,1]
	v_pk_mov_b32 v[6:7], v[16:17], v[16:17] op_sel:[0,1]
	s_and_saveexec_b64 s[38:39], s[40:41]
	s_cbranch_execz .LBB33_35
; %bb.30:                               ;   in Loop: Header=BB33_13 Depth=1
	v_pk_mov_b32 v[6:7], v[2:3], v[2:3] op_sel:[0,1]
	v_mov_b32_e32 v23, v22
	s_mov_b64 s[40:41], 0
	v_pk_mov_b32 v[24:25], v[12:13], v[12:13] op_sel:[0,1]
	v_pk_mov_b32 v[26:27], v[20:21], v[20:21] op_sel:[0,1]
	;; [unrolled: 1-line block ×3, first 2 shown]
.LBB33_31:                              ;   Parent Loop BB33_13 Depth=1
                                        ; =>  This Inner Loop Header: Depth=2
	global_load_dword v34, v[26:27], off offset:-2048
	global_load_dword v35, v[26:27], off
	v_lshlrev_b32_e32 v36, 2, v4
	v_lshlrev_b32_e32 v37, 2, v6
	ds_read_b32 v36, v36
	ds_read_b32 v37, v37
	v_add_co_u32_e32 v6, vcc, s43, v6
	v_addc_co_u32_e32 v7, vcc, 0, v7, vcc
	v_add_co_u32_e64 v24, s[12:13], -2, v24
	v_add_co_u32_e32 v4, vcc, s43, v4
	v_addc_co_u32_e64 v25, s[12:13], -1, v25, s[12:13]
	v_addc_co_u32_e32 v5, vcc, 0, v5, vcc
	v_cmp_eq_u64_e64 s[12:13], 0, v[24:25]
	s_or_b64 s[40:41], s[12:13], s[40:41]
	s_waitcnt vmcnt(0) lgkmcnt(0)
	v_pk_fma_f32 v[34:35], v[22:23], v[36:37], v[34:35]
	global_store_dword v[26:27], v34, off offset:-2048
	global_store_dword v[26:27], v35, off
	v_add_co_u32_e32 v26, vcc, 0x1000, v26
	v_addc_co_u32_e32 v27, vcc, 0, v27, vcc
	s_andn2_b64 exec, exec, s[40:41]
	s_cbranch_execnz .LBB33_31
; %bb.32:                               ;   in Loop: Header=BB33_13 Depth=1
	s_or_b64 exec, exec, s[40:41]
	s_mov_b64 s[12:13], 0
                                        ; implicit-def: $vgpr6_vgpr7
	s_and_saveexec_b64 s[40:41], s[10:11]
	s_xor_b64 s[40:41], exec, s[40:41]
; %bb.33:                               ;   in Loop: Header=BB33_13 Depth=1
	s_mov_b64 s[12:13], exec
	v_lshlrev_b64 v[6:7], 2, v[14:15]
; %bb.34:                               ;   in Loop: Header=BB33_13 Depth=1
	s_or_b64 exec, exec, s[40:41]
	s_orn2_b64 s[12:13], s[12:13], exec
	v_pk_mov_b32 v[4:5], v[14:15], v[14:15] op_sel:[0,1]
.LBB33_35:                              ;   in Loop: Header=BB33_13 Depth=1
	s_or_b64 exec, exec, s[38:39]
	s_andn2_b64 s[38:39], s[28:29], exec
	s_and_b64 s[12:13], s[12:13], exec
	s_or_b64 s[12:13], s[38:39], s[12:13]
.LBB33_36:                              ;   in Loop: Header=BB33_13 Depth=1
	s_or_b64 exec, exec, s[36:37]
	s_and_b64 exec, exec, s[12:13]
	s_cbranch_execz .LBB33_12
; %bb.37:                               ;   in Loop: Header=BB33_13 Depth=1
	v_mov_b32_e32 v24, s42
	v_add_co_u32_e32 v6, vcc, s33, v6
	v_lshlrev_b32_e32 v23, 2, v4
	v_addc_co_u32_e32 v7, vcc, v24, v7, vcc
	s_mov_b64 s[12:13], 0
.LBB33_38:                              ;   Parent Loop BB33_13 Depth=1
                                        ; =>  This Inner Loop Header: Depth=2
	global_load_dword v24, v[6:7], off
	ds_read_b32 v25, v23
	v_add_co_u32_e32 v4, vcc, 0x200, v4
	v_addc_co_u32_e32 v5, vcc, 0, v5, vcc
	v_cmp_le_i64_e32 vcc, s[16:17], v[4:5]
	s_or_b64 s[12:13], vcc, s[12:13]
	v_add_u32_e32 v23, 0x800, v23
	s_waitcnt vmcnt(0) lgkmcnt(0)
	v_fmac_f32_e32 v24, v22, v25
	global_store_dword v[6:7], v24, off
	v_add_co_u32_e32 v6, vcc, 0x800, v6
	v_addc_co_u32_e32 v7, vcc, 0, v7, vcc
	s_andn2_b64 exec, exec, s[12:13]
	s_cbranch_execnz .LBB33_38
	s_branch .LBB33_12
.LBB33_39:
	s_endpgm
	.section	.rodata,"a",@progbits
	.p2align	6, 0x0
	.amdhsa_kernel _ZN9rocsolver6v33100L22larf_left_kernel_smallILi512EflPKPfEEvT1_S5_T2_lS5_lPKT0_lS6_lS5_l
		.amdhsa_group_segment_fixed_size 10240
		.amdhsa_private_segment_fixed_size 0
		.amdhsa_kernarg_size 96
		.amdhsa_user_sgpr_count 6
		.amdhsa_user_sgpr_private_segment_buffer 1
		.amdhsa_user_sgpr_dispatch_ptr 0
		.amdhsa_user_sgpr_queue_ptr 0
		.amdhsa_user_sgpr_kernarg_segment_ptr 1
		.amdhsa_user_sgpr_dispatch_id 0
		.amdhsa_user_sgpr_flat_scratch_init 0
		.amdhsa_user_sgpr_kernarg_preload_length 0
		.amdhsa_user_sgpr_kernarg_preload_offset 0
		.amdhsa_user_sgpr_private_segment_size 0
		.amdhsa_uses_dynamic_stack 0
		.amdhsa_system_sgpr_private_segment_wavefront_offset 0
		.amdhsa_system_sgpr_workgroup_id_x 1
		.amdhsa_system_sgpr_workgroup_id_y 1
		.amdhsa_system_sgpr_workgroup_id_z 0
		.amdhsa_system_sgpr_workgroup_info 0
		.amdhsa_system_vgpr_workitem_id 0
		.amdhsa_next_free_vgpr 38
		.amdhsa_next_free_sgpr 44
		.amdhsa_accum_offset 40
		.amdhsa_reserve_vcc 1
		.amdhsa_reserve_flat_scratch 0
		.amdhsa_float_round_mode_32 0
		.amdhsa_float_round_mode_16_64 0
		.amdhsa_float_denorm_mode_32 3
		.amdhsa_float_denorm_mode_16_64 3
		.amdhsa_dx10_clamp 1
		.amdhsa_ieee_mode 1
		.amdhsa_fp16_overflow 0
		.amdhsa_tg_split 0
		.amdhsa_exception_fp_ieee_invalid_op 0
		.amdhsa_exception_fp_denorm_src 0
		.amdhsa_exception_fp_ieee_div_zero 0
		.amdhsa_exception_fp_ieee_overflow 0
		.amdhsa_exception_fp_ieee_underflow 0
		.amdhsa_exception_fp_ieee_inexact 0
		.amdhsa_exception_int_div_zero 0
	.end_amdhsa_kernel
	.section	.text._ZN9rocsolver6v33100L22larf_left_kernel_smallILi512EflPKPfEEvT1_S5_T2_lS5_lPKT0_lS6_lS5_l,"axG",@progbits,_ZN9rocsolver6v33100L22larf_left_kernel_smallILi512EflPKPfEEvT1_S5_T2_lS5_lPKT0_lS6_lS5_l,comdat
.Lfunc_end33:
	.size	_ZN9rocsolver6v33100L22larf_left_kernel_smallILi512EflPKPfEEvT1_S5_T2_lS5_lPKT0_lS6_lS5_l, .Lfunc_end33-_ZN9rocsolver6v33100L22larf_left_kernel_smallILi512EflPKPfEEvT1_S5_T2_lS5_lPKT0_lS6_lS5_l
                                        ; -- End function
	.section	.AMDGPU.csdata,"",@progbits
; Kernel info:
; codeLenInByte = 2264
; NumSgprs: 48
; NumVgprs: 38
; NumAgprs: 0
; TotalNumVgprs: 38
; ScratchSize: 0
; MemoryBound: 0
; FloatMode: 240
; IeeeMode: 1
; LDSByteSize: 10240 bytes/workgroup (compile time only)
; SGPRBlocks: 5
; VGPRBlocks: 4
; NumSGPRsForWavesPerEU: 48
; NumVGPRsForWavesPerEU: 38
; AccumOffset: 40
; Occupancy: 8
; WaveLimiterHint : 1
; COMPUTE_PGM_RSRC2:SCRATCH_EN: 0
; COMPUTE_PGM_RSRC2:USER_SGPR: 6
; COMPUTE_PGM_RSRC2:TRAP_HANDLER: 0
; COMPUTE_PGM_RSRC2:TGID_X_EN: 1
; COMPUTE_PGM_RSRC2:TGID_Y_EN: 1
; COMPUTE_PGM_RSRC2:TGID_Z_EN: 0
; COMPUTE_PGM_RSRC2:TIDIG_COMP_CNT: 0
; COMPUTE_PGM_RSRC3_GFX90A:ACCUM_OFFSET: 9
; COMPUTE_PGM_RSRC3_GFX90A:TG_SPLIT: 0
	.section	.text._ZN9rocsolver6v33100L22larf_left_kernel_smallILi1024EflPKPfEEvT1_S5_T2_lS5_lPKT0_lS6_lS5_l,"axG",@progbits,_ZN9rocsolver6v33100L22larf_left_kernel_smallILi1024EflPKPfEEvT1_S5_T2_lS5_lPKT0_lS6_lS5_l,comdat
	.globl	_ZN9rocsolver6v33100L22larf_left_kernel_smallILi1024EflPKPfEEvT1_S5_T2_lS5_lPKT0_lS6_lS5_l ; -- Begin function _ZN9rocsolver6v33100L22larf_left_kernel_smallILi1024EflPKPfEEvT1_S5_T2_lS5_lPKT0_lS6_lS5_l
	.p2align	8
	.type	_ZN9rocsolver6v33100L22larf_left_kernel_smallILi1024EflPKPfEEvT1_S5_T2_lS5_lPKT0_lS6_lS5_l,@function
_ZN9rocsolver6v33100L22larf_left_kernel_smallILi1024EflPKPfEEvT1_S5_T2_lS5_lPKT0_lS6_lS5_l: ; @_ZN9rocsolver6v33100L22larf_left_kernel_smallILi1024EflPKPfEEvT1_S5_T2_lS5_lPKT0_lS6_lS5_l
; %bb.0:
	s_load_dwordx8 s[16:23], s[4:5], 0x0
	s_load_dwordx2 s[26:27], s[4:5], 0x20
	s_load_dwordx8 s[8:15], s[4:5], 0x30
	s_mov_b32 s24, s7
	s_mov_b32 s7, 0
	s_lshl_b64 s[0:1], s[6:7], 3
	s_waitcnt lgkmcnt(0)
	s_add_u32 s2, s20, s0
	s_addc_u32 s3, s21, s1
	s_add_u32 s0, s12, s0
	s_addc_u32 s1, s13, s1
	v_cmp_gt_i64_e64 s[12:13], s[26:27], 0
	s_mov_b64 s[28:29], 0
	s_and_b64 vcc, exec, s[12:13]
	s_cbranch_vccnz .LBB34_2
; %bb.1:
	s_sub_u32 s7, 1, s16
	s_subb_u32 s12, 0, s17
	s_mul_i32 s13, s7, s27
	s_mul_hi_u32 s20, s7, s26
	s_add_i32 s13, s20, s13
	s_mul_i32 s12, s12, s26
	s_add_i32 s29, s13, s12
	s_mul_i32 s28, s7, s26
.LBB34_2:
	s_load_dwordx2 s[12:13], s[0:1], 0x0
	v_mov_b32_e32 v1, 0
	v_cmp_gt_i64_e64 s[0:1], s[16:17], v[0:1]
	v_not_b32_e32 v12, 0
	v_not_b32_e32 v13, v0
	s_and_saveexec_b64 s[20:21], s[0:1]
	s_cbranch_execz .LBB34_10
; %bb.3:
	s_load_dwordx2 s[30:31], s[2:3], 0x0
	v_mov_b32_e32 v2, s17
	v_add_co_u32_e32 v4, vcc, s16, v13
	v_addc_co_u32_e32 v5, vcc, v12, v2, vcc
	s_mov_b64 s[2:3], 0x3ff
	v_cmp_lt_u64_e32 vcc, s[2:3], v[4:5]
	s_mov_b64 s[2:3], -1
	v_pk_mov_b32 v[2:3], v[0:1], v[0:1] op_sel:[0,1]
	s_and_saveexec_b64 s[34:35], vcc
	s_cbranch_execz .LBB34_7
; %bb.4:
	s_lshl_b64 s[2:3], s[22:23], 2
	s_waitcnt lgkmcnt(0)
	s_add_u32 s7, s30, s2
	v_lshrrev_b64 v[2:3], 10, v[4:5]
	s_addc_u32 s25, s31, s3
	s_lshl_b64 s[2:3], s[28:29], 2
	v_add_co_u32_e32 v6, vcc, 1, v2
	s_add_u32 s7, s7, s2
	v_addc_co_u32_e32 v7, vcc, 0, v3, vcc
	v_or_b32_e32 v2, 0x400, v0
	v_mov_b32_e32 v3, v1
	s_addc_u32 s2, s25, s3
	v_and_b32_e32 v8, -2, v6
	v_mov_b32_e32 v9, v7
	v_pk_mov_b32 v[4:5], v[2:3], v[2:3] op_sel:[0,1]
	s_mov_b32 s25, s26
	s_mov_b32 s33, s27
	s_mov_b64 s[36:37], 0
	v_mov_b32_e32 v14, s2
	s_movk_i32 s38, 0x800
	v_pk_mov_b32 v[10:11], v[8:9], v[8:9] op_sel:[0,1]
	v_pk_mov_b32 v[2:3], v[0:1], v[0:1] op_sel:[0,1]
.LBB34_5:                               ; =>This Inner Loop Header: Depth=1
	v_mul_lo_u32 v21, v3, s26
	v_mul_lo_u32 v22, v2, s27
	v_mad_u64_u32 v[18:19], s[2:3], v2, s26, 0
	v_add3_u32 v19, v19, v22, v21
	v_mul_lo_u32 v15, v5, s25
	v_mul_lo_u32 v20, v4, s33
	v_mad_u64_u32 v[16:17], s[2:3], v4, s25, 0
	v_lshlrev_b64 v[18:19], 2, v[18:19]
	v_add3_u32 v17, v17, v20, v15
	v_add_co_u32_e32 v18, vcc, s7, v18
	v_lshlrev_b64 v[16:17], 2, v[16:17]
	v_addc_co_u32_e32 v19, vcc, v14, v19, vcc
	v_add_co_u32_e32 v16, vcc, s7, v16
	v_addc_co_u32_e32 v17, vcc, v14, v17, vcc
	global_load_dword v15, v[18:19], off
	global_load_dword v20, v[16:17], off
	v_lshlrev_b32_e32 v17, 2, v4
	v_add_co_u32_e32 v4, vcc, s38, v4
	v_add_co_u32_e64 v10, s[2:3], -2, v10
	v_addc_co_u32_e64 v11, s[2:3], -1, v11, s[2:3]
	v_addc_co_u32_e32 v5, vcc, 0, v5, vcc
	v_lshlrev_b32_e32 v16, 2, v2
	v_add_co_u32_e32 v2, vcc, 0x800, v2
	v_cmp_eq_u64_e64 s[2:3], 0, v[10:11]
	v_addc_co_u32_e32 v3, vcc, 0, v3, vcc
	s_or_b64 s[36:37], s[2:3], s[36:37]
	s_waitcnt vmcnt(1)
	ds_write_b32 v16, v15
	s_waitcnt vmcnt(0)
	ds_write_b32 v17, v20
	s_andn2_b64 exec, exec, s[36:37]
	s_cbranch_execnz .LBB34_5
; %bb.6:
	s_or_b64 exec, exec, s[36:37]
	v_lshlrev_b64 v[2:3], 10, v[8:9]
	v_cmp_ne_u64_e32 vcc, v[6:7], v[8:9]
	v_or_b32_e32 v3, 0, v3
	v_or_b32_e32 v2, v2, v0
	s_orn2_b64 s[2:3], vcc, exec
.LBB34_7:
	s_or_b64 exec, exec, s[34:35]
	s_and_b64 exec, exec, s[2:3]
	s_cbranch_execz .LBB34_10
; %bb.8:
	v_mad_u64_u32 v[4:5], s[2:3], v2, s26, 0
	s_lshl_b64 s[2:3], s[28:29], 2
	s_lshl_b64 s[22:23], s[22:23], 2
	s_waitcnt lgkmcnt(0)
	s_add_u32 s7, s30, s22
	v_mul_lo_u32 v6, v3, s26
	v_mul_lo_u32 v7, v2, s27
	s_addc_u32 s22, s31, s23
	v_add3_u32 v5, v5, v7, v6
	s_add_u32 s2, s7, s2
	v_lshlrev_b64 v[4:5], 2, v[4:5]
	s_addc_u32 s3, s22, s3
	v_mov_b32_e32 v6, s3
	v_add_co_u32_e32 v4, vcc, s2, v4
	s_lshl_b64 s[22:23], s[26:27], 12
	v_addc_co_u32_e32 v5, vcc, v6, v5, vcc
	v_lshlrev_b32_e32 v6, 2, v2
	s_mov_b64 s[26:27], 0
	v_mov_b32_e32 v7, s23
.LBB34_9:                               ; =>This Inner Loop Header: Depth=1
	global_load_dword v8, v[4:5], off
	v_add_co_u32_e32 v2, vcc, 0x400, v2
	v_addc_co_u32_e32 v3, vcc, 0, v3, vcc
	v_add_co_u32_e64 v4, s[2:3], s22, v4
	v_cmp_le_i64_e32 vcc, s[16:17], v[2:3]
	v_addc_co_u32_e64 v5, s[2:3], v5, v7, s[2:3]
	s_or_b64 s[26:27], vcc, s[26:27]
	s_waitcnt vmcnt(0)
	ds_write_b32 v6, v8
	v_add_u32_e32 v6, 0x1000, v6
	s_andn2_b64 exec, exec, s[26:27]
	s_cbranch_execnz .LBB34_9
.LBB34_10:
	s_or_b64 exec, exec, s[20:21]
	s_mov_b32 s25, 0
	v_pk_mov_b32 v[2:3], s[18:19], s[18:19] op_sel:[0,1]
	v_cmp_ge_i64_e32 vcc, s[24:25], v[2:3]
	s_waitcnt lgkmcnt(0)
	s_barrier
	s_cbranch_vccnz .LBB34_39
; %bb.11:
	s_load_dwordx2 s[26:27], s[4:5], 0x50
	s_mul_i32 s2, s6, s11
	s_mul_hi_u32 s3, s6, s10
	s_add_i32 s3, s3, s2
	s_mul_i32 s2, s6, s10
	s_lshl_b64 s[2:3], s[2:3], 2
	s_add_u32 s20, s8, s2
	s_addc_u32 s21, s9, s3
	s_cmp_gt_i32 s16, 1
	s_waitcnt lgkmcnt(0)
	s_mul_i32 s8, s24, s27
	s_mul_hi_u32 s9, s24, s26
	s_cselect_b64 s[22:23], -1, 0
	v_and_b32_e32 v2, 63, v0
	s_add_i32 s31, s9, s8
	s_mul_i32 s30, s24, s26
	v_cmp_eq_u32_e64 s[4:5], 0, v2
	v_mov_b32_e32 v3, s17
	v_add_co_u32_e32 v2, vcc, s16, v13
	s_add_u32 s8, s30, s14
	v_addc_co_u32_e32 v3, vcc, v12, v3, vcc
	s_addc_u32 s9, s31, s15
	s_lshl_b64 s[26:27], s[26:27], 8
	s_lshl_b64 s[30:31], s[30:31], 2
	;; [unrolled: 1-line block ×3, first 2 shown]
	v_mov_b32_e32 v5, s9
	v_add_co_u32_e32 v4, vcc, s8, v0
	s_add_u32 s14, s30, s14
	v_addc_co_u32_e32 v5, vcc, 0, v5, vcc
	v_lshrrev_b64 v[6:7], 10, v[2:3]
	s_addc_u32 s15, s31, s15
	v_add_co_u32_e32 v6, vcc, 1, v6
	s_add_u32 s33, s12, s14
	v_lshlrev_b64 v[4:5], 2, v[4:5]
	v_addc_co_u32_e32 v7, vcc, 0, v7, vcc
	v_lshlrev_b32_e32 v16, 2, v0
	s_addc_u32 s42, s13, s15
	v_mov_b32_e32 v9, s13
	v_add_co_u32_e32 v8, vcc, s12, v4
	v_mov_b32_e32 v4, s42
	v_add_co_u32_e64 v18, s[12:13], s33, v16
	s_mov_b64 s[8:9], 0x8400
	s_mov_b32 s10, -1
	v_addc_co_u32_e64 v19, s[12:13], 0, v4, s[12:13]
	v_addc_co_u32_e32 v9, vcc, v9, v5, vcc
	v_cmp_gt_u64_e64 s[28:29], s[8:9], v[2:3]
	s_mov_b64 s[8:9], 0x83ff
	s_brev_b32 s11, -4
	v_and_b32_e32 v12, -2, v6
	v_mov_b32_e32 v13, v7
	s_movk_i32 s12, 0x1000
	v_cmp_lt_u64_e64 s[8:9], s[8:9], v[2:3]
	v_lshlrev_b64 v[10:11], 2, v[2:3]
	v_cmp_lt_u64_e32 vcc, s[10:11], v[2:3]
	v_lshlrev_b64 v[2:3], 10, v[12:13]
	v_add_co_u32_e64 v20, s[12:13], s12, v18
	v_mbcnt_lo_u32_b32 v4, -1, 0
	v_cmp_gt_i32_e64 s[2:3], s16, v0
	v_lshrrev_b32_e32 v28, 4, v0
	v_cmp_eq_u32_e64 s[6:7], 0, v0
	v_and_b32_e32 v10, 0xfffff000, v10
	v_or_b32_e32 v15, 0, v3
	v_or_b32_e32 v14, v2, v0
	;; [unrolled: 1-line block ×3, first 2 shown]
	v_mov_b32_e32 v3, v1
	v_cmp_ne_u64_e64 s[10:11], v[6:7], v[12:13]
	v_lshlrev_b32_e32 v29, 2, v0
	v_mov_b32_e32 v17, 0
	v_addc_co_u32_e64 v21, s[12:13], 0, v19, s[12:13]
	s_mov_b64 s[14:15], 0
	v_mov_b32_e32 v30, 0x2004
	v_mov_b32_e32 v31, 0x200c
	;; [unrolled: 1-line block ×7, first 2 shown]
	v_mbcnt_hi_u32_b32 v37, -1, v4
	s_xor_b64 s[30:31], vcc, -1
	s_movk_i32 s43, 0x800
	s_branch .LBB34_13
.LBB34_12:                              ;   in Loop: Header=BB34_13 Depth=1
	s_or_b64 exec, exec, s[34:35]
	s_add_u32 s24, s24, 64
	v_mov_b32_e32 v4, s27
	v_add_co_u32_e32 v18, vcc, s26, v18
	s_addc_u32 s25, s25, 0
	v_addc_co_u32_e32 v19, vcc, v19, v4, vcc
	s_add_u32 s14, s14, 1
	v_add_co_u32_e32 v20, vcc, s26, v20
	s_addc_u32 s15, s15, 0
	v_addc_co_u32_e32 v21, vcc, v21, v4, vcc
	v_pk_mov_b32 v[4:5], s[18:19], s[18:19] op_sel:[0,1]
	s_add_u32 s33, s33, s26
	v_cmp_ge_i64_e32 vcc, s[24:25], v[4:5]
	s_addc_u32 s42, s42, s27
	s_cbranch_vccnz .LBB34_39
.LBB34_13:                              ; =>This Loop Header: Depth=1
                                        ;     Child Loop BB34_15 Depth 2
                                        ;     Child Loop BB34_31 Depth 2
	;; [unrolled: 1-line block ×3, first 2 shown]
	v_mov_b32_e32 v6, 0
	s_and_saveexec_b64 s[12:13], s[2:3]
	s_cbranch_execz .LBB34_17
; %bb.14:                               ;   in Loop: Header=BB34_13 Depth=1
	s_mov_b64 s[34:35], 0
	v_mov_b32_e32 v6, 0
	v_pk_mov_b32 v[4:5], v[18:19], v[18:19] op_sel:[0,1]
	v_mov_b32_e32 v7, v29
	v_mov_b32_e32 v22, v0
.LBB34_15:                              ;   Parent Loop BB34_13 Depth=1
                                        ; =>  This Inner Loop Header: Depth=2
	global_load_dword v23, v[4:5], off
	ds_read_b32 v24, v7
	v_add_co_u32_e32 v4, vcc, 0x1000, v4
	v_add_u32_e32 v22, 0x400, v22
	v_addc_co_u32_e32 v5, vcc, 0, v5, vcc
	v_cmp_le_i32_e32 vcc, s16, v22
	v_add_u32_e32 v7, 0x1000, v7
	s_or_b64 s[34:35], vcc, s[34:35]
	s_waitcnt vmcnt(0) lgkmcnt(0)
	v_mul_f32_e32 v23, v24, v23
	v_add_f32_e32 v6, v6, v23
	s_andn2_b64 exec, exec, s[34:35]
	s_cbranch_execnz .LBB34_15
; %bb.16:                               ;   in Loop: Header=BB34_13 Depth=1
	s_or_b64 exec, exec, s[34:35]
.LBB34_17:                              ;   in Loop: Header=BB34_13 Depth=1
	s_or_b64 exec, exec, s[12:13]
	s_and_b64 vcc, exec, s[22:23]
	s_cbranch_vccz .LBB34_24
; %bb.18:                               ;   in Loop: Header=BB34_13 Depth=1
	v_and_b32_e32 v4, 63, v37
	v_cmp_ne_u32_e32 vcc, 63, v4
	v_addc_co_u32_e32 v5, vcc, 0, v37, vcc
	v_lshlrev_b32_e32 v5, 2, v5
	ds_bpermute_b32 v5, v5, v6
	v_cmp_gt_u32_e32 vcc, 62, v4
	v_cndmask_b32_e64 v7, 0, 1, vcc
	v_lshlrev_b32_e32 v7, 1, v7
	v_add_lshl_u32 v7, v7, v37, 2
	s_waitcnt lgkmcnt(0)
	v_add_f32_e32 v5, v6, v5
	ds_bpermute_b32 v7, v7, v5
	v_cmp_gt_u32_e32 vcc, 60, v4
	v_cndmask_b32_e64 v22, 0, 1, vcc
	v_cmp_gt_u32_e32 vcc, 56, v4
	s_waitcnt lgkmcnt(0)
	v_add_f32_e32 v5, v5, v7
	v_lshlrev_b32_e32 v7, 2, v22
	v_add_lshl_u32 v7, v7, v37, 2
	ds_bpermute_b32 v7, v7, v5
	v_cndmask_b32_e64 v22, 0, 1, vcc
	v_cmp_gt_u32_e32 vcc, 48, v4
	s_waitcnt lgkmcnt(0)
	v_add_f32_e32 v5, v5, v7
	v_lshlrev_b32_e32 v7, 3, v22
	v_add_lshl_u32 v7, v7, v37, 2
	ds_bpermute_b32 v7, v7, v5
	v_cndmask_b32_e64 v22, 0, 1, vcc
	v_cmp_gt_u32_e32 vcc, 32, v4
	v_cndmask_b32_e64 v4, 0, 1, vcc
	v_lshlrev_b32_e32 v4, 5, v4
	s_waitcnt lgkmcnt(0)
	v_add_f32_e32 v5, v5, v7
	v_lshlrev_b32_e32 v7, 4, v22
	v_add_lshl_u32 v7, v7, v37, 2
	ds_bpermute_b32 v7, v7, v5
	v_add_lshl_u32 v4, v4, v37, 2
	s_waitcnt lgkmcnt(0)
	v_add_f32_e32 v5, v5, v7
	ds_bpermute_b32 v4, v4, v5
	s_waitcnt lgkmcnt(0)
	v_add_f32_e32 v4, v5, v4
	s_and_saveexec_b64 s[12:13], s[4:5]
	s_cbranch_execz .LBB34_20
; %bb.19:                               ;   in Loop: Header=BB34_13 Depth=1
	ds_write_b32 v28, v4 offset:8192
.LBB34_20:                              ;   in Loop: Header=BB34_13 Depth=1
	s_or_b64 exec, exec, s[12:13]
	s_mov_b64 s[34:35], 0
	s_mov_b64 s[12:13], 0
	s_waitcnt lgkmcnt(0)
	s_barrier
	s_waitcnt lgkmcnt(0)
                                        ; implicit-def: $vgpr5
	s_and_saveexec_b64 s[36:37], s[6:7]
	s_xor_b64 s[36:37], exec, s[36:37]
	s_cbranch_execz .LBB34_22
; %bb.21:                               ;   in Loop: Header=BB34_13 Depth=1
	ds_read2_b32 v[22:23], v30 offset1:1
	ds_read2_b32 v[24:25], v31 offset1:1
	;; [unrolled: 1-line block ×4, first 2 shown]
	s_mov_b64 s[12:13], exec
	s_waitcnt lgkmcnt(3)
	v_add_f32_e32 v4, v4, v22
	v_add_f32_e32 v4, v4, v23
	s_waitcnt lgkmcnt(2)
	v_add_f32_e32 v4, v4, v24
	v_add_f32_e32 v4, v4, v25
	;; [unrolled: 3-line block ×3, first 2 shown]
	s_waitcnt lgkmcnt(0)
	v_add_f32_e32 v7, v4, v38
	ds_read2_b32 v[4:5], v34 offset1:1
	v_add_f32_e32 v7, v7, v39
	ds_read2_b32 v[22:23], v35 offset1:1
	ds_read2_b32 v[24:25], v36 offset1:1
	ds_read_b32 v26, v17 offset:8252
	s_waitcnt lgkmcnt(3)
	v_add_f32_e32 v4, v7, v4
	v_add_f32_e32 v4, v4, v5
	s_waitcnt lgkmcnt(2)
	v_add_f32_e32 v4, v4, v22
	v_add_f32_e32 v4, v4, v23
	;; [unrolled: 3-line block ×3, first 2 shown]
	s_waitcnt lgkmcnt(0)
	v_add_f32_e32 v5, v4, v26
.LBB34_22:                              ;   in Loop: Header=BB34_13 Depth=1
	s_or_b64 exec, exec, s[36:37]
	s_and_b64 vcc, exec, s[34:35]
	s_cbranch_vccnz .LBB34_25
.LBB34_23:                              ;   in Loop: Header=BB34_13 Depth=1
	v_mov_b32_e32 v6, v5
	s_and_saveexec_b64 s[34:35], s[12:13]
	s_cbranch_execnz .LBB34_26
	s_branch .LBB34_27
.LBB34_24:                              ;   in Loop: Header=BB34_13 Depth=1
	s_mov_b64 s[12:13], 0
                                        ; implicit-def: $vgpr5
	s_cbranch_execz .LBB34_23
.LBB34_25:                              ;   in Loop: Header=BB34_13 Depth=1
	s_andn2_b64 s[12:13], s[12:13], exec
	s_and_b64 s[34:35], s[6:7], exec
	s_or_b64 s[12:13], s[12:13], s[34:35]
	s_and_saveexec_b64 s[34:35], s[12:13]
	s_cbranch_execz .LBB34_27
.LBB34_26:                              ;   in Loop: Header=BB34_13 Depth=1
	ds_write_b32 v17, v6 offset:8192
.LBB34_27:                              ;   in Loop: Header=BB34_13 Depth=1
	s_or_b64 exec, exec, s[34:35]
	s_waitcnt lgkmcnt(0)
	s_barrier
	s_and_saveexec_b64 s[34:35], s[0:1]
	s_cbranch_execz .LBB34_12
; %bb.28:                               ;   in Loop: Header=BB34_13 Depth=1
	global_load_dword v6, v17, s[20:21]
	ds_read_b32 v7, v17 offset:8192
	s_mov_b64 s[12:13], s[28:29]
	v_pk_mov_b32 v[4:5], v[0:1], v[0:1] op_sel:[0,1]
	s_waitcnt vmcnt(0) lgkmcnt(0)
	v_mul_f32_e64 v22, v7, -v6
	v_pk_mov_b32 v[6:7], v[16:17], v[16:17] op_sel:[0,1]
	s_and_saveexec_b64 s[36:37], s[8:9]
	s_cbranch_execz .LBB34_36
; %bb.29:                               ;   in Loop: Header=BB34_13 Depth=1
	s_mul_i32 s12, s27, s14
	s_mul_i32 s13, s26, s15
	v_mov_b32_e32 v4, s14
	s_add_i32 s38, s13, s12
	v_mad_u64_u32 v[4:5], s[12:13], s26, v4, v[8:9]
	v_add_u32_e32 v5, s38, v5
	v_add_co_u32_e32 v6, vcc, v4, v10
	v_addc_co_u32_e32 v7, vcc, v5, v11, vcc
	v_cmp_ge_u64_e32 vcc, v[6:7], v[4:5]
	s_mov_b64 s[12:13], -1
	s_and_b64 s[40:41], vcc, s[30:31]
	v_pk_mov_b32 v[4:5], v[0:1], v[0:1] op_sel:[0,1]
	v_pk_mov_b32 v[6:7], v[16:17], v[16:17] op_sel:[0,1]
	s_and_saveexec_b64 s[38:39], s[40:41]
	s_cbranch_execz .LBB34_35
; %bb.30:                               ;   in Loop: Header=BB34_13 Depth=1
	v_pk_mov_b32 v[6:7], v[2:3], v[2:3] op_sel:[0,1]
	v_mov_b32_e32 v23, v22
	s_mov_b64 s[40:41], 0
	v_pk_mov_b32 v[24:25], v[12:13], v[12:13] op_sel:[0,1]
	v_pk_mov_b32 v[26:27], v[20:21], v[20:21] op_sel:[0,1]
	;; [unrolled: 1-line block ×3, first 2 shown]
.LBB34_31:                              ;   Parent Loop BB34_13 Depth=1
                                        ; =>  This Inner Loop Header: Depth=2
	global_load_dword v38, v[26:27], off offset:-4096
	global_load_dword v39, v[26:27], off
	v_lshlrev_b32_e32 v40, 2, v4
	v_lshlrev_b32_e32 v41, 2, v6
	ds_read_b32 v40, v40
	ds_read_b32 v41, v41
	v_add_co_u32_e32 v6, vcc, s43, v6
	v_addc_co_u32_e32 v7, vcc, 0, v7, vcc
	v_add_co_u32_e64 v24, s[12:13], -2, v24
	v_add_co_u32_e32 v4, vcc, s43, v4
	v_addc_co_u32_e64 v25, s[12:13], -1, v25, s[12:13]
	v_addc_co_u32_e32 v5, vcc, 0, v5, vcc
	v_cmp_eq_u64_e64 s[12:13], 0, v[24:25]
	s_or_b64 s[40:41], s[12:13], s[40:41]
	s_waitcnt vmcnt(0) lgkmcnt(0)
	v_pk_fma_f32 v[38:39], v[22:23], v[40:41], v[38:39]
	global_store_dword v[26:27], v38, off offset:-4096
	global_store_dword v[26:27], v39, off
	v_add_co_u32_e32 v26, vcc, 0x2000, v26
	v_addc_co_u32_e32 v27, vcc, 0, v27, vcc
	s_andn2_b64 exec, exec, s[40:41]
	s_cbranch_execnz .LBB34_31
; %bb.32:                               ;   in Loop: Header=BB34_13 Depth=1
	s_or_b64 exec, exec, s[40:41]
	s_mov_b64 s[12:13], 0
                                        ; implicit-def: $vgpr6_vgpr7
	s_and_saveexec_b64 s[40:41], s[10:11]
	s_xor_b64 s[40:41], exec, s[40:41]
; %bb.33:                               ;   in Loop: Header=BB34_13 Depth=1
	s_mov_b64 s[12:13], exec
	v_lshlrev_b64 v[6:7], 2, v[14:15]
; %bb.34:                               ;   in Loop: Header=BB34_13 Depth=1
	s_or_b64 exec, exec, s[40:41]
	s_orn2_b64 s[12:13], s[12:13], exec
	v_pk_mov_b32 v[4:5], v[14:15], v[14:15] op_sel:[0,1]
.LBB34_35:                              ;   in Loop: Header=BB34_13 Depth=1
	s_or_b64 exec, exec, s[38:39]
	s_andn2_b64 s[38:39], s[28:29], exec
	s_and_b64 s[12:13], s[12:13], exec
	s_or_b64 s[12:13], s[38:39], s[12:13]
.LBB34_36:                              ;   in Loop: Header=BB34_13 Depth=1
	s_or_b64 exec, exec, s[36:37]
	s_and_b64 exec, exec, s[12:13]
	s_cbranch_execz .LBB34_12
; %bb.37:                               ;   in Loop: Header=BB34_13 Depth=1
	v_mov_b32_e32 v24, s42
	v_add_co_u32_e32 v6, vcc, s33, v6
	v_lshlrev_b32_e32 v23, 2, v4
	v_addc_co_u32_e32 v7, vcc, v24, v7, vcc
	s_mov_b64 s[12:13], 0
.LBB34_38:                              ;   Parent Loop BB34_13 Depth=1
                                        ; =>  This Inner Loop Header: Depth=2
	global_load_dword v24, v[6:7], off
	ds_read_b32 v25, v23
	v_add_co_u32_e32 v4, vcc, 0x400, v4
	v_addc_co_u32_e32 v5, vcc, 0, v5, vcc
	v_cmp_le_i64_e32 vcc, s[16:17], v[4:5]
	s_or_b64 s[12:13], vcc, s[12:13]
	v_add_u32_e32 v23, 0x1000, v23
	s_waitcnt vmcnt(0) lgkmcnt(0)
	v_fmac_f32_e32 v24, v22, v25
	global_store_dword v[6:7], v24, off
	v_add_co_u32_e32 v6, vcc, 0x1000, v6
	v_addc_co_u32_e32 v7, vcc, 0, v7, vcc
	s_andn2_b64 exec, exec, s[12:13]
	s_cbranch_execnz .LBB34_38
	s_branch .LBB34_12
.LBB34_39:
	s_endpgm
	.section	.rodata,"a",@progbits
	.p2align	6, 0x0
	.amdhsa_kernel _ZN9rocsolver6v33100L22larf_left_kernel_smallILi1024EflPKPfEEvT1_S5_T2_lS5_lPKT0_lS6_lS5_l
		.amdhsa_group_segment_fixed_size 12288
		.amdhsa_private_segment_fixed_size 0
		.amdhsa_kernarg_size 96
		.amdhsa_user_sgpr_count 6
		.amdhsa_user_sgpr_private_segment_buffer 1
		.amdhsa_user_sgpr_dispatch_ptr 0
		.amdhsa_user_sgpr_queue_ptr 0
		.amdhsa_user_sgpr_kernarg_segment_ptr 1
		.amdhsa_user_sgpr_dispatch_id 0
		.amdhsa_user_sgpr_flat_scratch_init 0
		.amdhsa_user_sgpr_kernarg_preload_length 0
		.amdhsa_user_sgpr_kernarg_preload_offset 0
		.amdhsa_user_sgpr_private_segment_size 0
		.amdhsa_uses_dynamic_stack 0
		.amdhsa_system_sgpr_private_segment_wavefront_offset 0
		.amdhsa_system_sgpr_workgroup_id_x 1
		.amdhsa_system_sgpr_workgroup_id_y 1
		.amdhsa_system_sgpr_workgroup_id_z 0
		.amdhsa_system_sgpr_workgroup_info 0
		.amdhsa_system_vgpr_workitem_id 0
		.amdhsa_next_free_vgpr 42
		.amdhsa_next_free_sgpr 44
		.amdhsa_accum_offset 44
		.amdhsa_reserve_vcc 1
		.amdhsa_reserve_flat_scratch 0
		.amdhsa_float_round_mode_32 0
		.amdhsa_float_round_mode_16_64 0
		.amdhsa_float_denorm_mode_32 3
		.amdhsa_float_denorm_mode_16_64 3
		.amdhsa_dx10_clamp 1
		.amdhsa_ieee_mode 1
		.amdhsa_fp16_overflow 0
		.amdhsa_tg_split 0
		.amdhsa_exception_fp_ieee_invalid_op 0
		.amdhsa_exception_fp_denorm_src 0
		.amdhsa_exception_fp_ieee_div_zero 0
		.amdhsa_exception_fp_ieee_overflow 0
		.amdhsa_exception_fp_ieee_underflow 0
		.amdhsa_exception_fp_ieee_inexact 0
		.amdhsa_exception_int_div_zero 0
	.end_amdhsa_kernel
	.section	.text._ZN9rocsolver6v33100L22larf_left_kernel_smallILi1024EflPKPfEEvT1_S5_T2_lS5_lPKT0_lS6_lS5_l,"axG",@progbits,_ZN9rocsolver6v33100L22larf_left_kernel_smallILi1024EflPKPfEEvT1_S5_T2_lS5_lPKT0_lS6_lS5_l,comdat
.Lfunc_end34:
	.size	_ZN9rocsolver6v33100L22larf_left_kernel_smallILi1024EflPKPfEEvT1_S5_T2_lS5_lPKT0_lS6_lS5_l, .Lfunc_end34-_ZN9rocsolver6v33100L22larf_left_kernel_smallILi1024EflPKPfEEvT1_S5_T2_lS5_lPKT0_lS6_lS5_l
                                        ; -- End function
	.section	.AMDGPU.csdata,"",@progbits
; Kernel info:
; codeLenInByte = 2376
; NumSgprs: 48
; NumVgprs: 42
; NumAgprs: 0
; TotalNumVgprs: 42
; ScratchSize: 0
; MemoryBound: 0
; FloatMode: 240
; IeeeMode: 1
; LDSByteSize: 12288 bytes/workgroup (compile time only)
; SGPRBlocks: 5
; VGPRBlocks: 5
; NumSGPRsForWavesPerEU: 48
; NumVGPRsForWavesPerEU: 42
; AccumOffset: 44
; Occupancy: 8
; WaveLimiterHint : 1
; COMPUTE_PGM_RSRC2:SCRATCH_EN: 0
; COMPUTE_PGM_RSRC2:USER_SGPR: 6
; COMPUTE_PGM_RSRC2:TRAP_HANDLER: 0
; COMPUTE_PGM_RSRC2:TGID_X_EN: 1
; COMPUTE_PGM_RSRC2:TGID_Y_EN: 1
; COMPUTE_PGM_RSRC2:TGID_Z_EN: 0
; COMPUTE_PGM_RSRC2:TIDIG_COMP_CNT: 0
; COMPUTE_PGM_RSRC3_GFX90A:ACCUM_OFFSET: 10
; COMPUTE_PGM_RSRC3_GFX90A:TG_SPLIT: 0
	.section	.text._ZN9rocsolver6v33100L23larf_right_kernel_smallILi64EflPKPfEEvT1_S5_T2_lS5_lPKT0_lS6_lS5_l,"axG",@progbits,_ZN9rocsolver6v33100L23larf_right_kernel_smallILi64EflPKPfEEvT1_S5_T2_lS5_lPKT0_lS6_lS5_l,comdat
	.globl	_ZN9rocsolver6v33100L23larf_right_kernel_smallILi64EflPKPfEEvT1_S5_T2_lS5_lPKT0_lS6_lS5_l ; -- Begin function _ZN9rocsolver6v33100L23larf_right_kernel_smallILi64EflPKPfEEvT1_S5_T2_lS5_lPKT0_lS6_lS5_l
	.p2align	8
	.type	_ZN9rocsolver6v33100L23larf_right_kernel_smallILi64EflPKPfEEvT1_S5_T2_lS5_lPKT0_lS6_lS5_l,@function
_ZN9rocsolver6v33100L23larf_right_kernel_smallILi64EflPKPfEEvT1_S5_T2_lS5_lPKT0_lS6_lS5_l: ; @_ZN9rocsolver6v33100L23larf_right_kernel_smallILi64EflPKPfEEvT1_S5_T2_lS5_lPKT0_lS6_lS5_l
; %bb.0:
	s_load_dwordx8 s[8:15], s[4:5], 0x0
	s_load_dwordx2 s[26:27], s[4:5], 0x20
	s_load_dwordx8 s[16:23], s[4:5], 0x30
	s_mov_b32 s24, s7
	s_mov_b32 s7, 0
	s_lshl_b64 s[0:1], s[6:7], 3
	s_waitcnt lgkmcnt(0)
	s_add_u32 s2, s12, s0
	s_addc_u32 s3, s13, s1
	s_add_u32 s0, s20, s0
	v_cmp_gt_i64_e64 s[12:13], s[26:27], 0
	s_addc_u32 s1, s21, s1
	s_mov_b64 s[28:29], 0
	s_and_b64 vcc, exec, s[12:13]
	s_cbranch_vccnz .LBB35_2
; %bb.1:
	s_sub_u32 s7, 1, s10
	s_subb_u32 s12, 0, s11
	s_mul_i32 s13, s7, s27
	s_mul_hi_u32 s20, s7, s26
	s_add_i32 s13, s20, s13
	s_mul_i32 s12, s12, s26
	s_add_i32 s29, s13, s12
	s_mul_i32 s28, s7, s26
.LBB35_2:
	s_load_dwordx2 s[12:13], s[0:1], 0x0
	v_mov_b32_e32 v1, 0
	v_cmp_gt_i64_e64 s[0:1], s[10:11], v[0:1]
	s_and_saveexec_b64 s[20:21], s[0:1]
	s_cbranch_execz .LBB35_10
; %bb.3:
	s_load_dwordx2 s[30:31], s[2:3], 0x0
	v_not_b32_e32 v3, v0
	v_not_b32_e32 v2, 0
	v_mov_b32_e32 v5, s11
	v_add_co_u32_e32 v4, vcc, s10, v3
	v_addc_co_u32_e32 v5, vcc, v2, v5, vcc
	v_cmp_lt_u64_e32 vcc, 63, v[4:5]
	s_mov_b64 s[2:3], -1
	v_pk_mov_b32 v[2:3], v[0:1], v[0:1] op_sel:[0,1]
	s_and_saveexec_b64 s[34:35], vcc
	s_cbranch_execz .LBB35_7
; %bb.4:
	s_lshl_b64 s[2:3], s[14:15], 2
	s_waitcnt lgkmcnt(0)
	s_add_u32 s7, s30, s2
	v_lshrrev_b64 v[2:3], 6, v[4:5]
	s_addc_u32 s25, s31, s3
	s_lshl_b64 s[2:3], s[28:29], 2
	v_add_co_u32_e32 v6, vcc, 1, v2
	s_add_u32 s7, s7, s2
	v_addc_co_u32_e32 v7, vcc, 0, v3, vcc
	v_or_b32_e32 v2, 64, v0
	v_mov_b32_e32 v3, v1
	s_addc_u32 s2, s25, s3
	v_and_b32_e32 v8, -2, v6
	v_mov_b32_e32 v9, v7
	v_pk_mov_b32 v[4:5], v[2:3], v[2:3] op_sel:[0,1]
	s_mov_b32 s25, s26
	s_mov_b32 s33, s27
	s_mov_b64 s[36:37], 0
	v_mov_b32_e32 v12, s2
	s_movk_i32 s38, 0x80
	v_pk_mov_b32 v[10:11], v[8:9], v[8:9] op_sel:[0,1]
	v_pk_mov_b32 v[2:3], v[0:1], v[0:1] op_sel:[0,1]
.LBB35_5:                               ; =>This Inner Loop Header: Depth=1
	v_mul_lo_u32 v19, v3, s26
	v_mul_lo_u32 v20, v2, s27
	v_mad_u64_u32 v[16:17], s[2:3], v2, s26, 0
	v_add3_u32 v17, v17, v20, v19
	v_mul_lo_u32 v13, v5, s25
	v_mul_lo_u32 v18, v4, s33
	v_mad_u64_u32 v[14:15], s[2:3], v4, s25, 0
	v_lshlrev_b64 v[16:17], 2, v[16:17]
	v_add3_u32 v15, v15, v18, v13
	v_add_co_u32_e32 v16, vcc, s7, v16
	v_lshlrev_b64 v[14:15], 2, v[14:15]
	v_addc_co_u32_e32 v17, vcc, v12, v17, vcc
	v_add_co_u32_e32 v14, vcc, s7, v14
	v_addc_co_u32_e32 v15, vcc, v12, v15, vcc
	global_load_dword v13, v[16:17], off
	global_load_dword v18, v[14:15], off
	v_lshlrev_b32_e32 v15, 2, v4
	v_add_co_u32_e32 v4, vcc, s38, v4
	v_add_co_u32_e64 v10, s[2:3], -2, v10
	v_addc_co_u32_e64 v11, s[2:3], -1, v11, s[2:3]
	v_addc_co_u32_e32 v5, vcc, 0, v5, vcc
	v_lshlrev_b32_e32 v14, 2, v2
	v_add_co_u32_e32 v2, vcc, 0x80, v2
	v_cmp_eq_u64_e64 s[2:3], 0, v[10:11]
	v_addc_co_u32_e32 v3, vcc, 0, v3, vcc
	s_or_b64 s[36:37], s[2:3], s[36:37]
	s_waitcnt vmcnt(1)
	ds_write_b32 v14, v13
	s_waitcnt vmcnt(0)
	ds_write_b32 v15, v18
	s_andn2_b64 exec, exec, s[36:37]
	s_cbranch_execnz .LBB35_5
; %bb.6:
	s_or_b64 exec, exec, s[36:37]
	v_lshlrev_b64 v[2:3], 6, v[8:9]
	v_cmp_ne_u64_e32 vcc, v[6:7], v[8:9]
	v_or_b32_e32 v3, 0, v3
	v_or_b32_e32 v2, v2, v0
	s_orn2_b64 s[2:3], vcc, exec
.LBB35_7:
	s_or_b64 exec, exec, s[34:35]
	s_and_b64 exec, exec, s[2:3]
	s_cbranch_execz .LBB35_10
; %bb.8:
	v_mad_u64_u32 v[4:5], s[2:3], v2, s26, 0
	s_lshl_b64 s[2:3], s[28:29], 2
	s_lshl_b64 s[14:15], s[14:15], 2
	s_waitcnt lgkmcnt(0)
	s_add_u32 s7, s30, s14
	v_mul_lo_u32 v6, v3, s26
	v_mul_lo_u32 v7, v2, s27
	s_addc_u32 s14, s31, s15
	v_add3_u32 v5, v5, v7, v6
	s_add_u32 s2, s7, s2
	v_lshlrev_b64 v[4:5], 2, v[4:5]
	s_addc_u32 s3, s14, s3
	v_mov_b32_e32 v6, s3
	v_add_co_u32_e32 v4, vcc, s2, v4
	s_lshl_b64 s[2:3], s[26:27], 8
	v_addc_co_u32_e32 v5, vcc, v6, v5, vcc
	v_lshlrev_b32_e32 v6, 2, v2
	s_mov_b64 s[14:15], 0
	v_mov_b32_e32 v7, s3
.LBB35_9:                               ; =>This Inner Loop Header: Depth=1
	global_load_dword v8, v[4:5], off
	v_add_co_u32_e32 v2, vcc, 64, v2
	v_addc_co_u32_e32 v3, vcc, 0, v3, vcc
	v_add_co_u32_e32 v4, vcc, s2, v4
	v_addc_co_u32_e32 v5, vcc, v5, v7, vcc
	v_cmp_le_i64_e32 vcc, s[10:11], v[2:3]
	s_or_b64 s[14:15], vcc, s[14:15]
	s_waitcnt vmcnt(0)
	ds_write_b32 v6, v8
	v_add_u32_e32 v6, 0x100, v6
	s_andn2_b64 exec, exec, s[14:15]
	s_cbranch_execnz .LBB35_9
.LBB35_10:
	s_or_b64 exec, exec, s[20:21]
	s_mov_b32 s25, 0
	v_pk_mov_b32 v[2:3], s[8:9], s[8:9] op_sel:[0,1]
	v_cmp_ge_i64_e32 vcc, s[24:25], v[2:3]
	s_waitcnt lgkmcnt(0)
	; wave barrier
	s_waitcnt lgkmcnt(0)
	s_cbranch_vccnz .LBB35_28
; %bb.11:
	s_lshl_b64 s[2:3], s[22:23], 2
	s_load_dwordx2 s[14:15], s[4:5], 0x50
	s_add_u32 s20, s12, s2
	s_addc_u32 s21, s13, s3
	s_mul_i32 s2, s6, s19
	s_mul_hi_u32 s3, s6, s18
	s_add_i32 s3, s3, s2
	s_mul_i32 s2, s6, s18
	s_lshl_b64 s[2:3], s[2:3], 2
	s_add_u32 s4, s16, s2
	s_addc_u32 s5, s17, s3
	s_waitcnt lgkmcnt(0)
	v_mad_u64_u32 v[2:3], s[16:17], s14, v0, 0
	v_mov_b32_e32 v4, v3
	s_cmp_gt_i32 s10, 1
	v_mad_u64_u32 v[4:5], s[16:17], s15, v0, v[4:5]
	s_cselect_b64 s[6:7], -1, 0
	s_lshl_b32 s18, s14, 6
	s_lshl_b64 s[16:17], s[24:25], 2
	v_mov_b32_e32 v3, v4
	s_add_u32 s16, s20, s16
	v_lshlrev_b64 v[2:3], 2, v[2:3]
	s_addc_u32 s17, s21, s17
	v_mbcnt_lo_u32_b32 v6, -1, 0
	v_mov_b32_e32 v4, s17
	v_add_co_u32_e32 v2, vcc, s16, v2
	v_mbcnt_hi_u32_b32 v14, -1, v6
	v_cmp_gt_i32_e64 s[2:3], s10, v0
	v_cmp_eq_u32_e64 s[12:13], 0, v0
	v_lshrrev_b32_e32 v10, 4, v0
	v_lshlrev_b32_e32 v11, 2, v0
	v_mul_lo_u32 v12, v0, s14
	v_addc_co_u32_e32 v3, vcc, v4, v3, vcc
	s_lshl_b64 s[14:15], s[14:15], 8
	v_mov_b32_e32 v13, 0
	v_pk_mov_b32 v[4:5], s[8:9], s[8:9] op_sel:[0,1]
	v_and_b32_e32 v15, 63, v14
	s_branch .LBB35_13
.LBB35_12:                              ;   in Loop: Header=BB35_13 Depth=1
	s_or_b64 exec, exec, s[8:9]
	s_add_u32 s24, s24, 64
	v_add_co_u32_e32 v2, vcc, 0x100, v2
	s_addc_u32 s25, s25, 0
	v_addc_co_u32_e32 v3, vcc, 0, v3, vcc
	v_cmp_ge_i64_e32 vcc, s[24:25], v[4:5]
	s_cbranch_vccnz .LBB35_28
.LBB35_13:                              ; =>This Loop Header: Depth=1
                                        ;     Child Loop BB35_15 Depth 2
                                        ;     Child Loop BB35_27 Depth 2
	v_mov_b32_e32 v8, 0
	s_and_saveexec_b64 s[8:9], s[2:3]
	s_cbranch_execz .LBB35_17
; %bb.14:                               ;   in Loop: Header=BB35_13 Depth=1
	s_lshl_b64 s[16:17], s[24:25], 2
	s_add_u32 s19, s20, s16
	s_addc_u32 s22, s21, s17
	s_mov_b64 s[16:17], 0
	v_mov_b32_e32 v8, 0
	v_mov_b32_e32 v9, s22
	;; [unrolled: 1-line block ×5, first 2 shown]
.LBB35_15:                              ;   Parent Loop BB35_13 Depth=1
                                        ; =>  This Inner Loop Header: Depth=2
	v_ashrrev_i32_e32 v7, 31, v6
	v_lshlrev_b64 v[18:19], 2, v[6:7]
	v_add_co_u32_e32 v18, vcc, s19, v18
	v_addc_co_u32_e32 v19, vcc, v9, v19, vcc
	global_load_dword v7, v[18:19], off
	ds_read_b32 v18, v16
	v_add_u32_e32 v17, 64, v17
	v_cmp_le_i32_e32 vcc, s10, v17
	v_add_u32_e32 v16, 0x100, v16
	v_add_u32_e32 v6, s18, v6
	s_or_b64 s[16:17], vcc, s[16:17]
	s_waitcnt vmcnt(0) lgkmcnt(0)
	v_mul_f32_e32 v7, v18, v7
	v_add_f32_e32 v8, v8, v7
	s_andn2_b64 exec, exec, s[16:17]
	s_cbranch_execnz .LBB35_15
; %bb.16:                               ;   in Loop: Header=BB35_13 Depth=1
	s_or_b64 exec, exec, s[16:17]
.LBB35_17:                              ;   in Loop: Header=BB35_13 Depth=1
	s_or_b64 exec, exec, s[8:9]
	s_and_b64 vcc, exec, s[6:7]
	s_cbranch_vccz .LBB35_22
; %bb.18:                               ;   in Loop: Header=BB35_13 Depth=1
	v_cmp_ne_u32_e32 vcc, 63, v15
	v_addc_co_u32_e32 v6, vcc, 0, v14, vcc
	v_lshlrev_b32_e32 v6, 2, v6
	ds_bpermute_b32 v6, v6, v8
	v_cmp_gt_u32_e32 vcc, 62, v15
	v_cndmask_b32_e64 v7, 0, 1, vcc
	v_lshlrev_b32_e32 v7, 1, v7
	v_add_lshl_u32 v7, v7, v14, 2
	s_waitcnt lgkmcnt(0)
	v_add_f32_e32 v6, v8, v6
	ds_bpermute_b32 v7, v7, v6
	v_cmp_gt_u32_e32 vcc, 60, v15
	v_cndmask_b32_e64 v9, 0, 1, vcc
	v_cmp_gt_u32_e32 vcc, 56, v15
	s_waitcnt lgkmcnt(0)
	v_add_f32_e32 v6, v6, v7
	v_lshlrev_b32_e32 v7, 2, v9
	v_add_lshl_u32 v7, v7, v14, 2
	ds_bpermute_b32 v7, v7, v6
	v_cndmask_b32_e64 v9, 0, 1, vcc
	v_cmp_gt_u32_e32 vcc, 48, v15
	s_waitcnt lgkmcnt(0)
	v_add_f32_e32 v6, v6, v7
	v_lshlrev_b32_e32 v7, 3, v9
	v_add_lshl_u32 v7, v7, v14, 2
	ds_bpermute_b32 v7, v7, v6
	;; [unrolled: 7-line block ×3, first 2 shown]
	v_cndmask_b32_e64 v9, 0, 1, vcc
	s_waitcnt lgkmcnt(0)
	v_add_f32_e32 v6, v6, v7
	v_lshlrev_b32_e32 v7, 5, v9
	v_add_lshl_u32 v7, v7, v14, 2
	ds_bpermute_b32 v7, v7, v6
	s_waitcnt lgkmcnt(0)
	v_add_f32_e32 v6, v6, v7
	s_and_saveexec_b64 s[8:9], s[12:13]
	s_cbranch_execz .LBB35_20
; %bb.19:                               ;   in Loop: Header=BB35_13 Depth=1
	ds_write_b32 v10, v6 offset:8192
.LBB35_20:                              ;   in Loop: Header=BB35_13 Depth=1
	s_or_b64 exec, exec, s[8:9]
	s_waitcnt lgkmcnt(0)
	; wave barrier
	s_waitcnt lgkmcnt(0)
	s_mov_b64 s[8:9], s[12:13]
.LBB35_21:                              ;   in Loop: Header=BB35_13 Depth=1
	v_mov_b32_e32 v8, v6
	s_and_saveexec_b64 s[16:17], s[8:9]
	s_cbranch_execnz .LBB35_24
	s_branch .LBB35_25
.LBB35_22:                              ;   in Loop: Header=BB35_13 Depth=1
	s_mov_b64 s[8:9], 0
                                        ; implicit-def: $vgpr6
	s_cbranch_execz .LBB35_21
; %bb.23:                               ;   in Loop: Header=BB35_13 Depth=1
	s_andn2_b64 s[8:9], s[8:9], exec
	s_and_b64 s[16:17], s[12:13], exec
	s_or_b64 s[8:9], s[8:9], s[16:17]
	s_and_saveexec_b64 s[16:17], s[8:9]
	s_cbranch_execz .LBB35_25
.LBB35_24:                              ;   in Loop: Header=BB35_13 Depth=1
	ds_write_b32 v13, v8 offset:8192
.LBB35_25:                              ;   in Loop: Header=BB35_13 Depth=1
	s_or_b64 exec, exec, s[16:17]
	s_waitcnt lgkmcnt(0)
	; wave barrier
	s_waitcnt lgkmcnt(0)
	s_and_saveexec_b64 s[8:9], s[0:1]
	s_cbranch_execz .LBB35_12
; %bb.26:                               ;   in Loop: Header=BB35_13 Depth=1
	global_load_dword v8, v13, s[4:5]
	ds_read_b32 v9, v13 offset:8192
	s_mov_b64 s[16:17], 0
	v_mov_b32_e32 v16, v11
	v_pk_mov_b32 v[6:7], v[2:3], v[2:3] op_sel:[0,1]
	s_waitcnt vmcnt(0) lgkmcnt(0)
	v_mul_f32_e64 v17, v9, -v8
	v_pk_mov_b32 v[8:9], v[0:1], v[0:1] op_sel:[0,1]
.LBB35_27:                              ;   Parent Loop BB35_13 Depth=1
                                        ; =>  This Inner Loop Header: Depth=2
	global_load_dword v18, v[6:7], off
	ds_read_b32 v19, v16
	v_add_co_u32_e32 v8, vcc, 64, v8
	v_addc_co_u32_e32 v9, vcc, 0, v9, vcc
	v_cmp_le_i64_e32 vcc, s[10:11], v[8:9]
	v_mov_b32_e32 v20, s15
	s_or_b64 s[16:17], vcc, s[16:17]
	v_add_u32_e32 v16, 0x100, v16
	s_waitcnt vmcnt(0) lgkmcnt(0)
	v_fmac_f32_e32 v18, v17, v19
	global_store_dword v[6:7], v18, off
	v_add_co_u32_e32 v6, vcc, s14, v6
	v_addc_co_u32_e32 v7, vcc, v7, v20, vcc
	s_andn2_b64 exec, exec, s[16:17]
	s_cbranch_execnz .LBB35_27
	s_branch .LBB35_12
.LBB35_28:
	s_endpgm
	.section	.rodata,"a",@progbits
	.p2align	6, 0x0
	.amdhsa_kernel _ZN9rocsolver6v33100L23larf_right_kernel_smallILi64EflPKPfEEvT1_S5_T2_lS5_lPKT0_lS6_lS5_l
		.amdhsa_group_segment_fixed_size 8196
		.amdhsa_private_segment_fixed_size 0
		.amdhsa_kernarg_size 96
		.amdhsa_user_sgpr_count 6
		.amdhsa_user_sgpr_private_segment_buffer 1
		.amdhsa_user_sgpr_dispatch_ptr 0
		.amdhsa_user_sgpr_queue_ptr 0
		.amdhsa_user_sgpr_kernarg_segment_ptr 1
		.amdhsa_user_sgpr_dispatch_id 0
		.amdhsa_user_sgpr_flat_scratch_init 0
		.amdhsa_user_sgpr_kernarg_preload_length 0
		.amdhsa_user_sgpr_kernarg_preload_offset 0
		.amdhsa_user_sgpr_private_segment_size 0
		.amdhsa_uses_dynamic_stack 0
		.amdhsa_system_sgpr_private_segment_wavefront_offset 0
		.amdhsa_system_sgpr_workgroup_id_x 1
		.amdhsa_system_sgpr_workgroup_id_y 1
		.amdhsa_system_sgpr_workgroup_id_z 0
		.amdhsa_system_sgpr_workgroup_info 0
		.amdhsa_system_vgpr_workitem_id 0
		.amdhsa_next_free_vgpr 21
		.amdhsa_next_free_sgpr 39
		.amdhsa_accum_offset 24
		.amdhsa_reserve_vcc 1
		.amdhsa_reserve_flat_scratch 0
		.amdhsa_float_round_mode_32 0
		.amdhsa_float_round_mode_16_64 0
		.amdhsa_float_denorm_mode_32 3
		.amdhsa_float_denorm_mode_16_64 3
		.amdhsa_dx10_clamp 1
		.amdhsa_ieee_mode 1
		.amdhsa_fp16_overflow 0
		.amdhsa_tg_split 0
		.amdhsa_exception_fp_ieee_invalid_op 0
		.amdhsa_exception_fp_denorm_src 0
		.amdhsa_exception_fp_ieee_div_zero 0
		.amdhsa_exception_fp_ieee_overflow 0
		.amdhsa_exception_fp_ieee_underflow 0
		.amdhsa_exception_fp_ieee_inexact 0
		.amdhsa_exception_int_div_zero 0
	.end_amdhsa_kernel
	.section	.text._ZN9rocsolver6v33100L23larf_right_kernel_smallILi64EflPKPfEEvT1_S5_T2_lS5_lPKT0_lS6_lS5_l,"axG",@progbits,_ZN9rocsolver6v33100L23larf_right_kernel_smallILi64EflPKPfEEvT1_S5_T2_lS5_lPKT0_lS6_lS5_l,comdat
.Lfunc_end35:
	.size	_ZN9rocsolver6v33100L23larf_right_kernel_smallILi64EflPKPfEEvT1_S5_T2_lS5_lPKT0_lS6_lS5_l, .Lfunc_end35-_ZN9rocsolver6v33100L23larf_right_kernel_smallILi64EflPKPfEEvT1_S5_T2_lS5_lPKT0_lS6_lS5_l
                                        ; -- End function
	.section	.AMDGPU.csdata,"",@progbits
; Kernel info:
; codeLenInByte = 1556
; NumSgprs: 43
; NumVgprs: 21
; NumAgprs: 0
; TotalNumVgprs: 21
; ScratchSize: 0
; MemoryBound: 0
; FloatMode: 240
; IeeeMode: 1
; LDSByteSize: 8196 bytes/workgroup (compile time only)
; SGPRBlocks: 5
; VGPRBlocks: 2
; NumSGPRsForWavesPerEU: 43
; NumVGPRsForWavesPerEU: 21
; AccumOffset: 24
; Occupancy: 2
; WaveLimiterHint : 1
; COMPUTE_PGM_RSRC2:SCRATCH_EN: 0
; COMPUTE_PGM_RSRC2:USER_SGPR: 6
; COMPUTE_PGM_RSRC2:TRAP_HANDLER: 0
; COMPUTE_PGM_RSRC2:TGID_X_EN: 1
; COMPUTE_PGM_RSRC2:TGID_Y_EN: 1
; COMPUTE_PGM_RSRC2:TGID_Z_EN: 0
; COMPUTE_PGM_RSRC2:TIDIG_COMP_CNT: 0
; COMPUTE_PGM_RSRC3_GFX90A:ACCUM_OFFSET: 5
; COMPUTE_PGM_RSRC3_GFX90A:TG_SPLIT: 0
	.section	.text._ZN9rocsolver6v33100L23larf_right_kernel_smallILi128EflPKPfEEvT1_S5_T2_lS5_lPKT0_lS6_lS5_l,"axG",@progbits,_ZN9rocsolver6v33100L23larf_right_kernel_smallILi128EflPKPfEEvT1_S5_T2_lS5_lPKT0_lS6_lS5_l,comdat
	.globl	_ZN9rocsolver6v33100L23larf_right_kernel_smallILi128EflPKPfEEvT1_S5_T2_lS5_lPKT0_lS6_lS5_l ; -- Begin function _ZN9rocsolver6v33100L23larf_right_kernel_smallILi128EflPKPfEEvT1_S5_T2_lS5_lPKT0_lS6_lS5_l
	.p2align	8
	.type	_ZN9rocsolver6v33100L23larf_right_kernel_smallILi128EflPKPfEEvT1_S5_T2_lS5_lPKT0_lS6_lS5_l,@function
_ZN9rocsolver6v33100L23larf_right_kernel_smallILi128EflPKPfEEvT1_S5_T2_lS5_lPKT0_lS6_lS5_l: ; @_ZN9rocsolver6v33100L23larf_right_kernel_smallILi128EflPKPfEEvT1_S5_T2_lS5_lPKT0_lS6_lS5_l
; %bb.0:
	s_load_dwordx8 s[8:15], s[4:5], 0x0
	s_load_dwordx2 s[26:27], s[4:5], 0x20
	s_load_dwordx8 s[16:23], s[4:5], 0x30
	s_mov_b32 s24, s7
	s_mov_b32 s7, 0
	s_lshl_b64 s[0:1], s[6:7], 3
	s_waitcnt lgkmcnt(0)
	s_add_u32 s2, s12, s0
	s_addc_u32 s3, s13, s1
	s_add_u32 s0, s20, s0
	v_cmp_gt_i64_e64 s[12:13], s[26:27], 0
	s_addc_u32 s1, s21, s1
	s_mov_b64 s[28:29], 0
	s_and_b64 vcc, exec, s[12:13]
	s_cbranch_vccnz .LBB36_2
; %bb.1:
	s_sub_u32 s7, 1, s10
	s_subb_u32 s12, 0, s11
	s_mul_i32 s13, s7, s27
	s_mul_hi_u32 s20, s7, s26
	s_add_i32 s13, s20, s13
	s_mul_i32 s12, s12, s26
	s_add_i32 s29, s13, s12
	s_mul_i32 s28, s7, s26
.LBB36_2:
	s_load_dwordx2 s[12:13], s[0:1], 0x0
	v_mov_b32_e32 v1, 0
	v_cmp_gt_i64_e64 s[0:1], s[10:11], v[0:1]
	s_and_saveexec_b64 s[20:21], s[0:1]
	s_cbranch_execz .LBB36_10
; %bb.3:
	s_load_dwordx2 s[30:31], s[2:3], 0x0
	v_not_b32_e32 v3, v0
	v_not_b32_e32 v2, 0
	v_mov_b32_e32 v5, s11
	v_add_co_u32_e32 v4, vcc, s10, v3
	v_addc_co_u32_e32 v5, vcc, v2, v5, vcc
	s_mov_b64 s[2:3], 0x7f
	v_cmp_lt_u64_e32 vcc, s[2:3], v[4:5]
	s_mov_b64 s[2:3], -1
	v_pk_mov_b32 v[2:3], v[0:1], v[0:1] op_sel:[0,1]
	s_and_saveexec_b64 s[34:35], vcc
	s_cbranch_execz .LBB36_7
; %bb.4:
	s_lshl_b64 s[2:3], s[14:15], 2
	s_waitcnt lgkmcnt(0)
	s_add_u32 s7, s30, s2
	v_lshrrev_b64 v[2:3], 7, v[4:5]
	s_addc_u32 s25, s31, s3
	s_lshl_b64 s[2:3], s[28:29], 2
	v_add_co_u32_e32 v6, vcc, 1, v2
	s_add_u32 s7, s7, s2
	v_addc_co_u32_e32 v7, vcc, 0, v3, vcc
	v_or_b32_e32 v2, 0x80, v0
	v_mov_b32_e32 v3, v1
	s_addc_u32 s2, s25, s3
	v_and_b32_e32 v8, -2, v6
	v_mov_b32_e32 v9, v7
	v_pk_mov_b32 v[4:5], v[2:3], v[2:3] op_sel:[0,1]
	s_mov_b32 s25, s26
	s_mov_b32 s33, s27
	s_mov_b64 s[36:37], 0
	v_mov_b32_e32 v12, s2
	s_movk_i32 s38, 0x100
	v_pk_mov_b32 v[10:11], v[8:9], v[8:9] op_sel:[0,1]
	v_pk_mov_b32 v[2:3], v[0:1], v[0:1] op_sel:[0,1]
.LBB36_5:                               ; =>This Inner Loop Header: Depth=1
	v_mul_lo_u32 v19, v3, s26
	v_mul_lo_u32 v20, v2, s27
	v_mad_u64_u32 v[16:17], s[2:3], v2, s26, 0
	v_add3_u32 v17, v17, v20, v19
	v_mul_lo_u32 v13, v5, s25
	v_mul_lo_u32 v18, v4, s33
	v_mad_u64_u32 v[14:15], s[2:3], v4, s25, 0
	v_lshlrev_b64 v[16:17], 2, v[16:17]
	v_add3_u32 v15, v15, v18, v13
	v_add_co_u32_e32 v16, vcc, s7, v16
	v_lshlrev_b64 v[14:15], 2, v[14:15]
	v_addc_co_u32_e32 v17, vcc, v12, v17, vcc
	v_add_co_u32_e32 v14, vcc, s7, v14
	v_addc_co_u32_e32 v15, vcc, v12, v15, vcc
	global_load_dword v13, v[16:17], off
	global_load_dword v18, v[14:15], off
	v_lshlrev_b32_e32 v15, 2, v4
	v_add_co_u32_e32 v4, vcc, s38, v4
	v_add_co_u32_e64 v10, s[2:3], -2, v10
	v_addc_co_u32_e64 v11, s[2:3], -1, v11, s[2:3]
	v_addc_co_u32_e32 v5, vcc, 0, v5, vcc
	v_lshlrev_b32_e32 v14, 2, v2
	v_add_co_u32_e32 v2, vcc, 0x100, v2
	v_cmp_eq_u64_e64 s[2:3], 0, v[10:11]
	v_addc_co_u32_e32 v3, vcc, 0, v3, vcc
	s_or_b64 s[36:37], s[2:3], s[36:37]
	s_waitcnt vmcnt(1)
	ds_write_b32 v14, v13
	s_waitcnt vmcnt(0)
	ds_write_b32 v15, v18
	s_andn2_b64 exec, exec, s[36:37]
	s_cbranch_execnz .LBB36_5
; %bb.6:
	s_or_b64 exec, exec, s[36:37]
	v_lshlrev_b64 v[2:3], 7, v[8:9]
	v_cmp_ne_u64_e32 vcc, v[6:7], v[8:9]
	v_or_b32_e32 v3, 0, v3
	v_or_b32_e32 v2, v2, v0
	s_orn2_b64 s[2:3], vcc, exec
.LBB36_7:
	s_or_b64 exec, exec, s[34:35]
	s_and_b64 exec, exec, s[2:3]
	s_cbranch_execz .LBB36_10
; %bb.8:
	v_mad_u64_u32 v[4:5], s[2:3], v2, s26, 0
	s_lshl_b64 s[2:3], s[28:29], 2
	s_lshl_b64 s[14:15], s[14:15], 2
	s_waitcnt lgkmcnt(0)
	s_add_u32 s7, s30, s14
	v_mul_lo_u32 v6, v3, s26
	v_mul_lo_u32 v7, v2, s27
	s_addc_u32 s14, s31, s15
	v_add3_u32 v5, v5, v7, v6
	s_add_u32 s2, s7, s2
	v_lshlrev_b64 v[4:5], 2, v[4:5]
	s_addc_u32 s3, s14, s3
	v_mov_b32_e32 v6, s3
	v_add_co_u32_e32 v4, vcc, s2, v4
	s_lshl_b64 s[14:15], s[26:27], 9
	v_addc_co_u32_e32 v5, vcc, v6, v5, vcc
	v_lshlrev_b32_e32 v6, 2, v2
	s_mov_b64 s[26:27], 0
	v_mov_b32_e32 v7, s15
.LBB36_9:                               ; =>This Inner Loop Header: Depth=1
	global_load_dword v8, v[4:5], off
	v_add_co_u32_e32 v2, vcc, 0x80, v2
	v_addc_co_u32_e32 v3, vcc, 0, v3, vcc
	v_add_co_u32_e64 v4, s[2:3], s14, v4
	v_cmp_le_i64_e32 vcc, s[10:11], v[2:3]
	v_addc_co_u32_e64 v5, s[2:3], v5, v7, s[2:3]
	s_or_b64 s[26:27], vcc, s[26:27]
	s_waitcnt vmcnt(0)
	ds_write_b32 v6, v8
	v_add_u32_e32 v6, 0x200, v6
	s_andn2_b64 exec, exec, s[26:27]
	s_cbranch_execnz .LBB36_9
.LBB36_10:
	s_or_b64 exec, exec, s[20:21]
	s_mov_b32 s25, 0
	v_pk_mov_b32 v[2:3], s[8:9], s[8:9] op_sel:[0,1]
	v_cmp_ge_i64_e32 vcc, s[24:25], v[2:3]
	s_waitcnt lgkmcnt(0)
	s_barrier
	s_cbranch_vccnz .LBB36_30
; %bb.11:
	s_lshl_b64 s[2:3], s[22:23], 2
	s_load_dwordx2 s[20:21], s[4:5], 0x50
	s_add_u32 s22, s12, s2
	s_addc_u32 s23, s13, s3
	s_mul_i32 s2, s6, s19
	s_mul_hi_u32 s3, s6, s18
	s_add_i32 s3, s3, s2
	s_mul_i32 s2, s6, s18
	s_lshl_b64 s[2:3], s[2:3], 2
	s_add_u32 s12, s16, s2
	v_and_b32_e32 v2, 63, v0
	s_addc_u32 s13, s17, s3
	v_cmp_eq_u32_e64 s[4:5], 0, v2
	s_waitcnt lgkmcnt(0)
	v_mad_u64_u32 v[2:3], s[16:17], s20, v0, 0
	v_mov_b32_e32 v4, v3
	s_cmp_gt_i32 s10, 1
	v_mad_u64_u32 v[4:5], s[16:17], s21, v0, v[4:5]
	s_cselect_b64 s[14:15], -1, 0
	s_lshl_b32 s26, s20, 7
	s_lshl_b64 s[16:17], s[24:25], 2
	v_mov_b32_e32 v3, v4
	s_add_u32 s16, s22, s16
	v_lshlrev_b64 v[2:3], 2, v[2:3]
	s_addc_u32 s17, s23, s17
	v_mbcnt_lo_u32_b32 v6, -1, 0
	v_mov_b32_e32 v4, s17
	v_add_co_u32_e32 v2, vcc, s16, v2
	v_mbcnt_hi_u32_b32 v14, -1, v6
	v_cmp_gt_i32_e64 s[2:3], s10, v0
	v_lshrrev_b32_e32 v10, 4, v0
	v_cmp_eq_u32_e64 s[6:7], 0, v0
	v_lshlrev_b32_e32 v11, 2, v0
	v_mul_lo_u32 v12, v0, s20
	v_addc_co_u32_e32 v3, vcc, v4, v3, vcc
	s_lshl_b64 s[16:17], s[20:21], 9
	v_mov_b32_e32 v13, 0
	v_pk_mov_b32 v[4:5], s[8:9], s[8:9] op_sel:[0,1]
	v_and_b32_e32 v15, 63, v14
	s_branch .LBB36_13
.LBB36_12:                              ;   in Loop: Header=BB36_13 Depth=1
	s_or_b64 exec, exec, s[8:9]
	s_add_u32 s24, s24, 64
	v_add_co_u32_e32 v2, vcc, 0x100, v2
	s_addc_u32 s25, s25, 0
	v_addc_co_u32_e32 v3, vcc, 0, v3, vcc
	v_cmp_ge_i64_e32 vcc, s[24:25], v[4:5]
	s_cbranch_vccnz .LBB36_30
.LBB36_13:                              ; =>This Loop Header: Depth=1
                                        ;     Child Loop BB36_15 Depth 2
                                        ;     Child Loop BB36_29 Depth 2
	v_mov_b32_e32 v8, 0
	s_and_saveexec_b64 s[8:9], s[2:3]
	s_cbranch_execz .LBB36_17
; %bb.14:                               ;   in Loop: Header=BB36_13 Depth=1
	s_lshl_b64 s[18:19], s[24:25], 2
	s_add_u32 s20, s22, s18
	s_addc_u32 s21, s23, s19
	s_mov_b64 s[18:19], 0
	v_mov_b32_e32 v8, 0
	v_mov_b32_e32 v9, s21
	;; [unrolled: 1-line block ×5, first 2 shown]
.LBB36_15:                              ;   Parent Loop BB36_13 Depth=1
                                        ; =>  This Inner Loop Header: Depth=2
	v_ashrrev_i32_e32 v7, 31, v6
	v_lshlrev_b64 v[18:19], 2, v[6:7]
	v_add_co_u32_e32 v18, vcc, s20, v18
	v_addc_co_u32_e32 v19, vcc, v9, v19, vcc
	global_load_dword v7, v[18:19], off
	ds_read_b32 v18, v16
	v_add_u32_e32 v17, 0x80, v17
	v_cmp_le_i32_e32 vcc, s10, v17
	v_add_u32_e32 v16, 0x200, v16
	v_add_u32_e32 v6, s26, v6
	s_or_b64 s[18:19], vcc, s[18:19]
	s_waitcnt vmcnt(0) lgkmcnt(0)
	v_mul_f32_e32 v7, v18, v7
	v_add_f32_e32 v8, v8, v7
	s_andn2_b64 exec, exec, s[18:19]
	s_cbranch_execnz .LBB36_15
; %bb.16:                               ;   in Loop: Header=BB36_13 Depth=1
	s_or_b64 exec, exec, s[18:19]
.LBB36_17:                              ;   in Loop: Header=BB36_13 Depth=1
	s_or_b64 exec, exec, s[8:9]
	s_and_b64 vcc, exec, s[14:15]
	s_cbranch_vccz .LBB36_24
; %bb.18:                               ;   in Loop: Header=BB36_13 Depth=1
	v_cmp_ne_u32_e32 vcc, 63, v15
	v_addc_co_u32_e32 v6, vcc, 0, v14, vcc
	v_lshlrev_b32_e32 v6, 2, v6
	ds_bpermute_b32 v6, v6, v8
	v_cmp_gt_u32_e32 vcc, 62, v15
	v_cndmask_b32_e64 v7, 0, 1, vcc
	v_lshlrev_b32_e32 v7, 1, v7
	v_add_lshl_u32 v7, v7, v14, 2
	s_waitcnt lgkmcnt(0)
	v_add_f32_e32 v6, v8, v6
	ds_bpermute_b32 v7, v7, v6
	v_cmp_gt_u32_e32 vcc, 60, v15
	v_cndmask_b32_e64 v9, 0, 1, vcc
	v_cmp_gt_u32_e32 vcc, 56, v15
	s_waitcnt lgkmcnt(0)
	v_add_f32_e32 v6, v6, v7
	v_lshlrev_b32_e32 v7, 2, v9
	v_add_lshl_u32 v7, v7, v14, 2
	ds_bpermute_b32 v7, v7, v6
	v_cndmask_b32_e64 v9, 0, 1, vcc
	v_cmp_gt_u32_e32 vcc, 48, v15
	s_waitcnt lgkmcnt(0)
	v_add_f32_e32 v6, v6, v7
	v_lshlrev_b32_e32 v7, 3, v9
	v_add_lshl_u32 v7, v7, v14, 2
	ds_bpermute_b32 v7, v7, v6
	;; [unrolled: 7-line block ×3, first 2 shown]
	v_cndmask_b32_e64 v9, 0, 1, vcc
	s_waitcnt lgkmcnt(0)
	v_add_f32_e32 v6, v6, v7
	v_lshlrev_b32_e32 v7, 5, v9
	v_add_lshl_u32 v7, v7, v14, 2
	ds_bpermute_b32 v7, v7, v6
	s_waitcnt lgkmcnt(0)
	v_add_f32_e32 v7, v6, v7
	s_and_saveexec_b64 s[8:9], s[4:5]
	s_cbranch_execz .LBB36_20
; %bb.19:                               ;   in Loop: Header=BB36_13 Depth=1
	ds_write_b32 v10, v7 offset:8192
.LBB36_20:                              ;   in Loop: Header=BB36_13 Depth=1
	s_or_b64 exec, exec, s[8:9]
	s_mov_b64 s[18:19], 0
	s_mov_b64 s[8:9], 0
	s_waitcnt lgkmcnt(0)
	s_barrier
	s_waitcnt lgkmcnt(0)
                                        ; implicit-def: $vgpr6
	s_and_saveexec_b64 s[20:21], s[6:7]
	s_xor_b64 s[20:21], exec, s[20:21]
	s_cbranch_execz .LBB36_22
; %bb.21:                               ;   in Loop: Header=BB36_13 Depth=1
	ds_read_b32 v6, v13 offset:8196
	s_mov_b64 s[8:9], exec
	s_waitcnt lgkmcnt(0)
	v_add_f32_e32 v6, v7, v6
.LBB36_22:                              ;   in Loop: Header=BB36_13 Depth=1
	s_or_b64 exec, exec, s[20:21]
	s_and_b64 vcc, exec, s[18:19]
	s_cbranch_vccnz .LBB36_25
.LBB36_23:                              ;   in Loop: Header=BB36_13 Depth=1
	v_mov_b32_e32 v8, v6
	s_and_saveexec_b64 s[18:19], s[8:9]
	s_cbranch_execnz .LBB36_26
	s_branch .LBB36_27
.LBB36_24:                              ;   in Loop: Header=BB36_13 Depth=1
	s_mov_b64 s[8:9], 0
                                        ; implicit-def: $vgpr6
	s_cbranch_execz .LBB36_23
.LBB36_25:                              ;   in Loop: Header=BB36_13 Depth=1
	s_andn2_b64 s[8:9], s[8:9], exec
	s_and_b64 s[18:19], s[6:7], exec
	s_or_b64 s[8:9], s[8:9], s[18:19]
	s_and_saveexec_b64 s[18:19], s[8:9]
	s_cbranch_execz .LBB36_27
.LBB36_26:                              ;   in Loop: Header=BB36_13 Depth=1
	ds_write_b32 v13, v8 offset:8192
.LBB36_27:                              ;   in Loop: Header=BB36_13 Depth=1
	s_or_b64 exec, exec, s[18:19]
	s_waitcnt lgkmcnt(0)
	s_barrier
	s_and_saveexec_b64 s[8:9], s[0:1]
	s_cbranch_execz .LBB36_12
; %bb.28:                               ;   in Loop: Header=BB36_13 Depth=1
	global_load_dword v8, v13, s[12:13]
	ds_read_b32 v9, v13 offset:8192
	s_mov_b64 s[18:19], 0
	v_mov_b32_e32 v16, v11
	v_pk_mov_b32 v[6:7], v[2:3], v[2:3] op_sel:[0,1]
	s_waitcnt vmcnt(0) lgkmcnt(0)
	v_mul_f32_e64 v17, v9, -v8
	v_pk_mov_b32 v[8:9], v[0:1], v[0:1] op_sel:[0,1]
.LBB36_29:                              ;   Parent Loop BB36_13 Depth=1
                                        ; =>  This Inner Loop Header: Depth=2
	global_load_dword v18, v[6:7], off
	ds_read_b32 v19, v16
	v_add_co_u32_e32 v8, vcc, 0x80, v8
	v_addc_co_u32_e32 v9, vcc, 0, v9, vcc
	v_cmp_le_i64_e32 vcc, s[10:11], v[8:9]
	v_mov_b32_e32 v20, s17
	s_or_b64 s[18:19], vcc, s[18:19]
	v_add_u32_e32 v16, 0x200, v16
	s_waitcnt vmcnt(0) lgkmcnt(0)
	v_fmac_f32_e32 v18, v17, v19
	global_store_dword v[6:7], v18, off
	v_add_co_u32_e32 v6, vcc, s16, v6
	v_addc_co_u32_e32 v7, vcc, v7, v20, vcc
	s_andn2_b64 exec, exec, s[18:19]
	s_cbranch_execnz .LBB36_29
	s_branch .LBB36_12
.LBB36_30:
	s_endpgm
	.section	.rodata,"a",@progbits
	.p2align	6, 0x0
	.amdhsa_kernel _ZN9rocsolver6v33100L23larf_right_kernel_smallILi128EflPKPfEEvT1_S5_T2_lS5_lPKT0_lS6_lS5_l
		.amdhsa_group_segment_fixed_size 8200
		.amdhsa_private_segment_fixed_size 0
		.amdhsa_kernarg_size 96
		.amdhsa_user_sgpr_count 6
		.amdhsa_user_sgpr_private_segment_buffer 1
		.amdhsa_user_sgpr_dispatch_ptr 0
		.amdhsa_user_sgpr_queue_ptr 0
		.amdhsa_user_sgpr_kernarg_segment_ptr 1
		.amdhsa_user_sgpr_dispatch_id 0
		.amdhsa_user_sgpr_flat_scratch_init 0
		.amdhsa_user_sgpr_kernarg_preload_length 0
		.amdhsa_user_sgpr_kernarg_preload_offset 0
		.amdhsa_user_sgpr_private_segment_size 0
		.amdhsa_uses_dynamic_stack 0
		.amdhsa_system_sgpr_private_segment_wavefront_offset 0
		.amdhsa_system_sgpr_workgroup_id_x 1
		.amdhsa_system_sgpr_workgroup_id_y 1
		.amdhsa_system_sgpr_workgroup_id_z 0
		.amdhsa_system_sgpr_workgroup_info 0
		.amdhsa_system_vgpr_workitem_id 0
		.amdhsa_next_free_vgpr 21
		.amdhsa_next_free_sgpr 39
		.amdhsa_accum_offset 24
		.amdhsa_reserve_vcc 1
		.amdhsa_reserve_flat_scratch 0
		.amdhsa_float_round_mode_32 0
		.amdhsa_float_round_mode_16_64 0
		.amdhsa_float_denorm_mode_32 3
		.amdhsa_float_denorm_mode_16_64 3
		.amdhsa_dx10_clamp 1
		.amdhsa_ieee_mode 1
		.amdhsa_fp16_overflow 0
		.amdhsa_tg_split 0
		.amdhsa_exception_fp_ieee_invalid_op 0
		.amdhsa_exception_fp_denorm_src 0
		.amdhsa_exception_fp_ieee_div_zero 0
		.amdhsa_exception_fp_ieee_overflow 0
		.amdhsa_exception_fp_ieee_underflow 0
		.amdhsa_exception_fp_ieee_inexact 0
		.amdhsa_exception_int_div_zero 0
	.end_amdhsa_kernel
	.section	.text._ZN9rocsolver6v33100L23larf_right_kernel_smallILi128EflPKPfEEvT1_S5_T2_lS5_lPKT0_lS6_lS5_l,"axG",@progbits,_ZN9rocsolver6v33100L23larf_right_kernel_smallILi128EflPKPfEEvT1_S5_T2_lS5_lPKT0_lS6_lS5_l,comdat
.Lfunc_end36:
	.size	_ZN9rocsolver6v33100L23larf_right_kernel_smallILi128EflPKPfEEvT1_S5_T2_lS5_lPKT0_lS6_lS5_l, .Lfunc_end36-_ZN9rocsolver6v33100L23larf_right_kernel_smallILi128EflPKPfEEvT1_S5_T2_lS5_lPKT0_lS6_lS5_l
                                        ; -- End function
	.section	.AMDGPU.csdata,"",@progbits
; Kernel info:
; codeLenInByte = 1652
; NumSgprs: 43
; NumVgprs: 21
; NumAgprs: 0
; TotalNumVgprs: 21
; ScratchSize: 0
; MemoryBound: 0
; FloatMode: 240
; IeeeMode: 1
; LDSByteSize: 8200 bytes/workgroup (compile time only)
; SGPRBlocks: 5
; VGPRBlocks: 2
; NumSGPRsForWavesPerEU: 43
; NumVGPRsForWavesPerEU: 21
; AccumOffset: 24
; Occupancy: 4
; WaveLimiterHint : 1
; COMPUTE_PGM_RSRC2:SCRATCH_EN: 0
; COMPUTE_PGM_RSRC2:USER_SGPR: 6
; COMPUTE_PGM_RSRC2:TRAP_HANDLER: 0
; COMPUTE_PGM_RSRC2:TGID_X_EN: 1
; COMPUTE_PGM_RSRC2:TGID_Y_EN: 1
; COMPUTE_PGM_RSRC2:TGID_Z_EN: 0
; COMPUTE_PGM_RSRC2:TIDIG_COMP_CNT: 0
; COMPUTE_PGM_RSRC3_GFX90A:ACCUM_OFFSET: 5
; COMPUTE_PGM_RSRC3_GFX90A:TG_SPLIT: 0
	.section	.text._ZN9rocsolver6v33100L23larf_right_kernel_smallILi256EflPKPfEEvT1_S5_T2_lS5_lPKT0_lS6_lS5_l,"axG",@progbits,_ZN9rocsolver6v33100L23larf_right_kernel_smallILi256EflPKPfEEvT1_S5_T2_lS5_lPKT0_lS6_lS5_l,comdat
	.globl	_ZN9rocsolver6v33100L23larf_right_kernel_smallILi256EflPKPfEEvT1_S5_T2_lS5_lPKT0_lS6_lS5_l ; -- Begin function _ZN9rocsolver6v33100L23larf_right_kernel_smallILi256EflPKPfEEvT1_S5_T2_lS5_lPKT0_lS6_lS5_l
	.p2align	8
	.type	_ZN9rocsolver6v33100L23larf_right_kernel_smallILi256EflPKPfEEvT1_S5_T2_lS5_lPKT0_lS6_lS5_l,@function
_ZN9rocsolver6v33100L23larf_right_kernel_smallILi256EflPKPfEEvT1_S5_T2_lS5_lPKT0_lS6_lS5_l: ; @_ZN9rocsolver6v33100L23larf_right_kernel_smallILi256EflPKPfEEvT1_S5_T2_lS5_lPKT0_lS6_lS5_l
; %bb.0:
	s_load_dwordx8 s[8:15], s[4:5], 0x0
	s_load_dwordx2 s[26:27], s[4:5], 0x20
	s_load_dwordx8 s[16:23], s[4:5], 0x30
	s_mov_b32 s24, s7
	s_mov_b32 s7, 0
	s_lshl_b64 s[0:1], s[6:7], 3
	s_waitcnt lgkmcnt(0)
	s_add_u32 s2, s12, s0
	s_addc_u32 s3, s13, s1
	s_add_u32 s0, s20, s0
	v_cmp_gt_i64_e64 s[12:13], s[26:27], 0
	s_addc_u32 s1, s21, s1
	s_mov_b64 s[28:29], 0
	s_and_b64 vcc, exec, s[12:13]
	s_cbranch_vccnz .LBB37_2
; %bb.1:
	s_sub_u32 s7, 1, s10
	s_subb_u32 s12, 0, s11
	s_mul_i32 s13, s7, s27
	s_mul_hi_u32 s20, s7, s26
	s_add_i32 s13, s20, s13
	s_mul_i32 s12, s12, s26
	s_add_i32 s29, s13, s12
	s_mul_i32 s28, s7, s26
.LBB37_2:
	s_load_dwordx2 s[12:13], s[0:1], 0x0
	v_mov_b32_e32 v1, 0
	v_cmp_gt_i64_e64 s[0:1], s[10:11], v[0:1]
	s_and_saveexec_b64 s[20:21], s[0:1]
	s_cbranch_execz .LBB37_10
; %bb.3:
	s_load_dwordx2 s[30:31], s[2:3], 0x0
	v_not_b32_e32 v3, v0
	v_not_b32_e32 v2, 0
	v_mov_b32_e32 v5, s11
	v_add_co_u32_e32 v4, vcc, s10, v3
	v_addc_co_u32_e32 v5, vcc, v2, v5, vcc
	s_mov_b64 s[2:3], 0xff
	v_cmp_lt_u64_e32 vcc, s[2:3], v[4:5]
	s_mov_b64 s[2:3], -1
	v_pk_mov_b32 v[2:3], v[0:1], v[0:1] op_sel:[0,1]
	s_and_saveexec_b64 s[34:35], vcc
	s_cbranch_execz .LBB37_7
; %bb.4:
	s_lshl_b64 s[2:3], s[14:15], 2
	s_waitcnt lgkmcnt(0)
	s_add_u32 s7, s30, s2
	v_lshrrev_b64 v[2:3], 8, v[4:5]
	s_addc_u32 s25, s31, s3
	s_lshl_b64 s[2:3], s[28:29], 2
	v_add_co_u32_e32 v6, vcc, 1, v2
	s_add_u32 s7, s7, s2
	v_addc_co_u32_e32 v7, vcc, 0, v3, vcc
	v_or_b32_e32 v2, 0x100, v0
	v_mov_b32_e32 v3, v1
	s_addc_u32 s2, s25, s3
	v_and_b32_e32 v8, -2, v6
	v_mov_b32_e32 v9, v7
	v_pk_mov_b32 v[4:5], v[2:3], v[2:3] op_sel:[0,1]
	s_mov_b32 s25, s26
	s_mov_b32 s33, s27
	s_mov_b64 s[36:37], 0
	v_mov_b32_e32 v12, s2
	s_movk_i32 s38, 0x200
	v_pk_mov_b32 v[10:11], v[8:9], v[8:9] op_sel:[0,1]
	v_pk_mov_b32 v[2:3], v[0:1], v[0:1] op_sel:[0,1]
.LBB37_5:                               ; =>This Inner Loop Header: Depth=1
	v_mul_lo_u32 v19, v3, s26
	v_mul_lo_u32 v20, v2, s27
	v_mad_u64_u32 v[16:17], s[2:3], v2, s26, 0
	v_add3_u32 v17, v17, v20, v19
	v_mul_lo_u32 v13, v5, s25
	v_mul_lo_u32 v18, v4, s33
	v_mad_u64_u32 v[14:15], s[2:3], v4, s25, 0
	v_lshlrev_b64 v[16:17], 2, v[16:17]
	v_add3_u32 v15, v15, v18, v13
	v_add_co_u32_e32 v16, vcc, s7, v16
	v_lshlrev_b64 v[14:15], 2, v[14:15]
	v_addc_co_u32_e32 v17, vcc, v12, v17, vcc
	v_add_co_u32_e32 v14, vcc, s7, v14
	v_addc_co_u32_e32 v15, vcc, v12, v15, vcc
	global_load_dword v13, v[16:17], off
	global_load_dword v18, v[14:15], off
	v_lshlrev_b32_e32 v15, 2, v4
	v_add_co_u32_e32 v4, vcc, s38, v4
	v_add_co_u32_e64 v10, s[2:3], -2, v10
	v_addc_co_u32_e64 v11, s[2:3], -1, v11, s[2:3]
	v_addc_co_u32_e32 v5, vcc, 0, v5, vcc
	v_lshlrev_b32_e32 v14, 2, v2
	v_add_co_u32_e32 v2, vcc, 0x200, v2
	v_cmp_eq_u64_e64 s[2:3], 0, v[10:11]
	v_addc_co_u32_e32 v3, vcc, 0, v3, vcc
	s_or_b64 s[36:37], s[2:3], s[36:37]
	s_waitcnt vmcnt(1)
	ds_write_b32 v14, v13
	s_waitcnt vmcnt(0)
	ds_write_b32 v15, v18
	s_andn2_b64 exec, exec, s[36:37]
	s_cbranch_execnz .LBB37_5
; %bb.6:
	s_or_b64 exec, exec, s[36:37]
	v_lshlrev_b64 v[2:3], 8, v[8:9]
	v_cmp_ne_u64_e32 vcc, v[6:7], v[8:9]
	v_or_b32_e32 v3, 0, v3
	v_or_b32_e32 v2, v2, v0
	s_orn2_b64 s[2:3], vcc, exec
.LBB37_7:
	s_or_b64 exec, exec, s[34:35]
	s_and_b64 exec, exec, s[2:3]
	s_cbranch_execz .LBB37_10
; %bb.8:
	v_mad_u64_u32 v[4:5], s[2:3], v2, s26, 0
	s_lshl_b64 s[2:3], s[28:29], 2
	s_lshl_b64 s[14:15], s[14:15], 2
	s_waitcnt lgkmcnt(0)
	s_add_u32 s7, s30, s14
	v_mul_lo_u32 v6, v3, s26
	v_mul_lo_u32 v7, v2, s27
	s_addc_u32 s14, s31, s15
	v_add3_u32 v5, v5, v7, v6
	s_add_u32 s2, s7, s2
	v_lshlrev_b64 v[4:5], 2, v[4:5]
	s_addc_u32 s3, s14, s3
	v_mov_b32_e32 v6, s3
	v_add_co_u32_e32 v4, vcc, s2, v4
	s_lshl_b64 s[14:15], s[26:27], 10
	v_addc_co_u32_e32 v5, vcc, v6, v5, vcc
	v_lshlrev_b32_e32 v6, 2, v2
	s_mov_b64 s[26:27], 0
	v_mov_b32_e32 v7, s15
.LBB37_9:                               ; =>This Inner Loop Header: Depth=1
	global_load_dword v8, v[4:5], off
	v_add_co_u32_e32 v2, vcc, 0x100, v2
	v_addc_co_u32_e32 v3, vcc, 0, v3, vcc
	v_add_co_u32_e64 v4, s[2:3], s14, v4
	v_cmp_le_i64_e32 vcc, s[10:11], v[2:3]
	v_addc_co_u32_e64 v5, s[2:3], v5, v7, s[2:3]
	s_or_b64 s[26:27], vcc, s[26:27]
	s_waitcnt vmcnt(0)
	ds_write_b32 v6, v8
	v_add_u32_e32 v6, 0x400, v6
	s_andn2_b64 exec, exec, s[26:27]
	s_cbranch_execnz .LBB37_9
.LBB37_10:
	s_or_b64 exec, exec, s[20:21]
	s_mov_b32 s25, 0
	v_pk_mov_b32 v[2:3], s[8:9], s[8:9] op_sel:[0,1]
	v_cmp_ge_i64_e32 vcc, s[24:25], v[2:3]
	s_waitcnt lgkmcnt(0)
	s_barrier
	s_cbranch_vccnz .LBB37_30
; %bb.11:
	s_lshl_b64 s[2:3], s[22:23], 2
	s_load_dwordx2 s[20:21], s[4:5], 0x50
	s_add_u32 s22, s12, s2
	s_addc_u32 s23, s13, s3
	s_mul_i32 s2, s6, s19
	s_mul_hi_u32 s3, s6, s18
	s_add_i32 s3, s3, s2
	s_mul_i32 s2, s6, s18
	s_lshl_b64 s[2:3], s[2:3], 2
	s_add_u32 s12, s16, s2
	v_and_b32_e32 v2, 63, v0
	s_addc_u32 s13, s17, s3
	v_cmp_eq_u32_e64 s[4:5], 0, v2
	s_waitcnt lgkmcnt(0)
	v_mad_u64_u32 v[2:3], s[16:17], s20, v0, 0
	v_mov_b32_e32 v4, v3
	s_cmp_gt_i32 s10, 1
	v_mad_u64_u32 v[4:5], s[16:17], s21, v0, v[4:5]
	s_cselect_b64 s[14:15], -1, 0
	s_lshl_b32 s26, s20, 8
	s_lshl_b64 s[16:17], s[24:25], 2
	v_mov_b32_e32 v3, v4
	s_add_u32 s16, s22, s16
	v_lshlrev_b64 v[2:3], 2, v[2:3]
	s_addc_u32 s17, s23, s17
	v_mbcnt_lo_u32_b32 v6, -1, 0
	v_mov_b32_e32 v4, s17
	v_add_co_u32_e32 v2, vcc, s16, v2
	v_mbcnt_hi_u32_b32 v15, -1, v6
	v_cmp_gt_i32_e64 s[2:3], s10, v0
	v_lshrrev_b32_e32 v10, 4, v0
	v_cmp_eq_u32_e64 s[6:7], 0, v0
	v_lshlrev_b32_e32 v11, 2, v0
	v_mul_lo_u32 v12, v0, s20
	v_addc_co_u32_e32 v3, vcc, v4, v3, vcc
	s_lshl_b64 s[16:17], s[20:21], 10
	v_mov_b32_e32 v13, 0x2004
	v_mov_b32_e32 v14, 0
	v_pk_mov_b32 v[4:5], s[8:9], s[8:9] op_sel:[0,1]
	v_and_b32_e32 v16, 63, v15
	s_branch .LBB37_13
.LBB37_12:                              ;   in Loop: Header=BB37_13 Depth=1
	s_or_b64 exec, exec, s[8:9]
	s_add_u32 s24, s24, 64
	v_add_co_u32_e32 v2, vcc, 0x100, v2
	s_addc_u32 s25, s25, 0
	v_addc_co_u32_e32 v3, vcc, 0, v3, vcc
	v_cmp_ge_i64_e32 vcc, s[24:25], v[4:5]
	s_cbranch_vccnz .LBB37_30
.LBB37_13:                              ; =>This Loop Header: Depth=1
                                        ;     Child Loop BB37_15 Depth 2
                                        ;     Child Loop BB37_29 Depth 2
	v_mov_b32_e32 v8, 0
	s_and_saveexec_b64 s[8:9], s[2:3]
	s_cbranch_execz .LBB37_17
; %bb.14:                               ;   in Loop: Header=BB37_13 Depth=1
	s_lshl_b64 s[18:19], s[24:25], 2
	s_add_u32 s20, s22, s18
	s_addc_u32 s21, s23, s19
	s_mov_b64 s[18:19], 0
	v_mov_b32_e32 v8, 0
	v_mov_b32_e32 v9, s21
	;; [unrolled: 1-line block ×5, first 2 shown]
.LBB37_15:                              ;   Parent Loop BB37_13 Depth=1
                                        ; =>  This Inner Loop Header: Depth=2
	v_ashrrev_i32_e32 v7, 31, v6
	v_lshlrev_b64 v[20:21], 2, v[6:7]
	v_add_co_u32_e32 v20, vcc, s20, v20
	v_addc_co_u32_e32 v21, vcc, v9, v21, vcc
	global_load_dword v7, v[20:21], off
	ds_read_b32 v19, v17
	v_add_u32_e32 v18, 0x100, v18
	v_cmp_le_i32_e32 vcc, s10, v18
	v_add_u32_e32 v17, 0x400, v17
	v_add_u32_e32 v6, s26, v6
	s_or_b64 s[18:19], vcc, s[18:19]
	s_waitcnt vmcnt(0) lgkmcnt(0)
	v_mul_f32_e32 v7, v19, v7
	v_add_f32_e32 v8, v8, v7
	s_andn2_b64 exec, exec, s[18:19]
	s_cbranch_execnz .LBB37_15
; %bb.16:                               ;   in Loop: Header=BB37_13 Depth=1
	s_or_b64 exec, exec, s[18:19]
.LBB37_17:                              ;   in Loop: Header=BB37_13 Depth=1
	s_or_b64 exec, exec, s[8:9]
	s_and_b64 vcc, exec, s[14:15]
	s_cbranch_vccz .LBB37_24
; %bb.18:                               ;   in Loop: Header=BB37_13 Depth=1
	v_cmp_ne_u32_e32 vcc, 63, v16
	v_addc_co_u32_e32 v6, vcc, 0, v15, vcc
	v_lshlrev_b32_e32 v6, 2, v6
	ds_bpermute_b32 v6, v6, v8
	v_cmp_gt_u32_e32 vcc, 62, v16
	v_cndmask_b32_e64 v7, 0, 1, vcc
	v_lshlrev_b32_e32 v7, 1, v7
	v_add_lshl_u32 v7, v7, v15, 2
	s_waitcnt lgkmcnt(0)
	v_add_f32_e32 v6, v8, v6
	ds_bpermute_b32 v7, v7, v6
	v_cmp_gt_u32_e32 vcc, 60, v16
	v_cndmask_b32_e64 v9, 0, 1, vcc
	v_cmp_gt_u32_e32 vcc, 56, v16
	s_waitcnt lgkmcnt(0)
	v_add_f32_e32 v6, v6, v7
	v_lshlrev_b32_e32 v7, 2, v9
	v_add_lshl_u32 v7, v7, v15, 2
	ds_bpermute_b32 v7, v7, v6
	v_cndmask_b32_e64 v9, 0, 1, vcc
	v_cmp_gt_u32_e32 vcc, 48, v16
	s_waitcnt lgkmcnt(0)
	v_add_f32_e32 v6, v6, v7
	v_lshlrev_b32_e32 v7, 3, v9
	v_add_lshl_u32 v7, v7, v15, 2
	ds_bpermute_b32 v7, v7, v6
	;; [unrolled: 7-line block ×3, first 2 shown]
	v_cndmask_b32_e64 v9, 0, 1, vcc
	s_waitcnt lgkmcnt(0)
	v_add_f32_e32 v6, v6, v7
	v_lshlrev_b32_e32 v7, 5, v9
	v_add_lshl_u32 v7, v7, v15, 2
	ds_bpermute_b32 v7, v7, v6
	s_waitcnt lgkmcnt(0)
	v_add_f32_e32 v7, v6, v7
	s_and_saveexec_b64 s[8:9], s[4:5]
	s_cbranch_execz .LBB37_20
; %bb.19:                               ;   in Loop: Header=BB37_13 Depth=1
	ds_write_b32 v10, v7 offset:8192
.LBB37_20:                              ;   in Loop: Header=BB37_13 Depth=1
	s_or_b64 exec, exec, s[8:9]
	s_mov_b64 s[18:19], 0
	s_mov_b64 s[8:9], 0
	s_waitcnt lgkmcnt(0)
	s_barrier
	s_waitcnt lgkmcnt(0)
                                        ; implicit-def: $vgpr6
	s_and_saveexec_b64 s[20:21], s[6:7]
	s_xor_b64 s[20:21], exec, s[20:21]
	s_cbranch_execz .LBB37_22
; %bb.21:                               ;   in Loop: Header=BB37_13 Depth=1
	ds_read2_b32 v[18:19], v13 offset1:1
	ds_read_b32 v6, v14 offset:8204
	s_mov_b64 s[8:9], exec
	s_waitcnt lgkmcnt(1)
	v_add_f32_e32 v7, v7, v18
	v_add_f32_e32 v7, v7, v19
	s_waitcnt lgkmcnt(0)
	v_add_f32_e32 v6, v7, v6
.LBB37_22:                              ;   in Loop: Header=BB37_13 Depth=1
	s_or_b64 exec, exec, s[20:21]
	s_and_b64 vcc, exec, s[18:19]
	s_cbranch_vccnz .LBB37_25
.LBB37_23:                              ;   in Loop: Header=BB37_13 Depth=1
	v_mov_b32_e32 v8, v6
	s_and_saveexec_b64 s[18:19], s[8:9]
	s_cbranch_execnz .LBB37_26
	s_branch .LBB37_27
.LBB37_24:                              ;   in Loop: Header=BB37_13 Depth=1
	s_mov_b64 s[8:9], 0
                                        ; implicit-def: $vgpr6
	s_cbranch_execz .LBB37_23
.LBB37_25:                              ;   in Loop: Header=BB37_13 Depth=1
	s_andn2_b64 s[8:9], s[8:9], exec
	s_and_b64 s[18:19], s[6:7], exec
	s_or_b64 s[8:9], s[8:9], s[18:19]
	s_and_saveexec_b64 s[18:19], s[8:9]
	s_cbranch_execz .LBB37_27
.LBB37_26:                              ;   in Loop: Header=BB37_13 Depth=1
	ds_write_b32 v14, v8 offset:8192
.LBB37_27:                              ;   in Loop: Header=BB37_13 Depth=1
	s_or_b64 exec, exec, s[18:19]
	s_waitcnt lgkmcnt(0)
	s_barrier
	s_and_saveexec_b64 s[8:9], s[0:1]
	s_cbranch_execz .LBB37_12
; %bb.28:                               ;   in Loop: Header=BB37_13 Depth=1
	global_load_dword v8, v14, s[12:13]
	ds_read_b32 v9, v14 offset:8192
	s_mov_b64 s[18:19], 0
	v_mov_b32_e32 v17, v11
	v_pk_mov_b32 v[6:7], v[2:3], v[2:3] op_sel:[0,1]
	s_waitcnt vmcnt(0) lgkmcnt(0)
	v_mul_f32_e64 v18, v9, -v8
	v_pk_mov_b32 v[8:9], v[0:1], v[0:1] op_sel:[0,1]
.LBB37_29:                              ;   Parent Loop BB37_13 Depth=1
                                        ; =>  This Inner Loop Header: Depth=2
	global_load_dword v19, v[6:7], off
	ds_read_b32 v20, v17
	v_add_co_u32_e32 v8, vcc, 0x100, v8
	v_addc_co_u32_e32 v9, vcc, 0, v9, vcc
	v_cmp_le_i64_e32 vcc, s[10:11], v[8:9]
	v_mov_b32_e32 v21, s17
	s_or_b64 s[18:19], vcc, s[18:19]
	v_add_u32_e32 v17, 0x400, v17
	s_waitcnt vmcnt(0) lgkmcnt(0)
	v_fmac_f32_e32 v19, v18, v20
	global_store_dword v[6:7], v19, off
	v_add_co_u32_e32 v6, vcc, s16, v6
	v_addc_co_u32_e32 v7, vcc, v7, v21, vcc
	s_andn2_b64 exec, exec, s[18:19]
	s_cbranch_execnz .LBB37_29
	s_branch .LBB37_12
.LBB37_30:
	s_endpgm
	.section	.rodata,"a",@progbits
	.p2align	6, 0x0
	.amdhsa_kernel _ZN9rocsolver6v33100L23larf_right_kernel_smallILi256EflPKPfEEvT1_S5_T2_lS5_lPKT0_lS6_lS5_l
		.amdhsa_group_segment_fixed_size 8208
		.amdhsa_private_segment_fixed_size 0
		.amdhsa_kernarg_size 96
		.amdhsa_user_sgpr_count 6
		.amdhsa_user_sgpr_private_segment_buffer 1
		.amdhsa_user_sgpr_dispatch_ptr 0
		.amdhsa_user_sgpr_queue_ptr 0
		.amdhsa_user_sgpr_kernarg_segment_ptr 1
		.amdhsa_user_sgpr_dispatch_id 0
		.amdhsa_user_sgpr_flat_scratch_init 0
		.amdhsa_user_sgpr_kernarg_preload_length 0
		.amdhsa_user_sgpr_kernarg_preload_offset 0
		.amdhsa_user_sgpr_private_segment_size 0
		.amdhsa_uses_dynamic_stack 0
		.amdhsa_system_sgpr_private_segment_wavefront_offset 0
		.amdhsa_system_sgpr_workgroup_id_x 1
		.amdhsa_system_sgpr_workgroup_id_y 1
		.amdhsa_system_sgpr_workgroup_id_z 0
		.amdhsa_system_sgpr_workgroup_info 0
		.amdhsa_system_vgpr_workitem_id 0
		.amdhsa_next_free_vgpr 22
		.amdhsa_next_free_sgpr 39
		.amdhsa_accum_offset 24
		.amdhsa_reserve_vcc 1
		.amdhsa_reserve_flat_scratch 0
		.amdhsa_float_round_mode_32 0
		.amdhsa_float_round_mode_16_64 0
		.amdhsa_float_denorm_mode_32 3
		.amdhsa_float_denorm_mode_16_64 3
		.amdhsa_dx10_clamp 1
		.amdhsa_ieee_mode 1
		.amdhsa_fp16_overflow 0
		.amdhsa_tg_split 0
		.amdhsa_exception_fp_ieee_invalid_op 0
		.amdhsa_exception_fp_denorm_src 0
		.amdhsa_exception_fp_ieee_div_zero 0
		.amdhsa_exception_fp_ieee_overflow 0
		.amdhsa_exception_fp_ieee_underflow 0
		.amdhsa_exception_fp_ieee_inexact 0
		.amdhsa_exception_int_div_zero 0
	.end_amdhsa_kernel
	.section	.text._ZN9rocsolver6v33100L23larf_right_kernel_smallILi256EflPKPfEEvT1_S5_T2_lS5_lPKT0_lS6_lS5_l,"axG",@progbits,_ZN9rocsolver6v33100L23larf_right_kernel_smallILi256EflPKPfEEvT1_S5_T2_lS5_lPKT0_lS6_lS5_l,comdat
.Lfunc_end37:
	.size	_ZN9rocsolver6v33100L23larf_right_kernel_smallILi256EflPKPfEEvT1_S5_T2_lS5_lPKT0_lS6_lS5_l, .Lfunc_end37-_ZN9rocsolver6v33100L23larf_right_kernel_smallILi256EflPKPfEEvT1_S5_T2_lS5_lPKT0_lS6_lS5_l
                                        ; -- End function
	.section	.AMDGPU.csdata,"",@progbits
; Kernel info:
; codeLenInByte = 1680
; NumSgprs: 43
; NumVgprs: 22
; NumAgprs: 0
; TotalNumVgprs: 22
; ScratchSize: 0
; MemoryBound: 0
; FloatMode: 240
; IeeeMode: 1
; LDSByteSize: 8208 bytes/workgroup (compile time only)
; SGPRBlocks: 5
; VGPRBlocks: 2
; NumSGPRsForWavesPerEU: 43
; NumVGPRsForWavesPerEU: 22
; AccumOffset: 24
; Occupancy: 7
; WaveLimiterHint : 1
; COMPUTE_PGM_RSRC2:SCRATCH_EN: 0
; COMPUTE_PGM_RSRC2:USER_SGPR: 6
; COMPUTE_PGM_RSRC2:TRAP_HANDLER: 0
; COMPUTE_PGM_RSRC2:TGID_X_EN: 1
; COMPUTE_PGM_RSRC2:TGID_Y_EN: 1
; COMPUTE_PGM_RSRC2:TGID_Z_EN: 0
; COMPUTE_PGM_RSRC2:TIDIG_COMP_CNT: 0
; COMPUTE_PGM_RSRC3_GFX90A:ACCUM_OFFSET: 5
; COMPUTE_PGM_RSRC3_GFX90A:TG_SPLIT: 0
	.section	.text._ZN9rocsolver6v33100L23larf_right_kernel_smallILi512EflPKPfEEvT1_S5_T2_lS5_lPKT0_lS6_lS5_l,"axG",@progbits,_ZN9rocsolver6v33100L23larf_right_kernel_smallILi512EflPKPfEEvT1_S5_T2_lS5_lPKT0_lS6_lS5_l,comdat
	.globl	_ZN9rocsolver6v33100L23larf_right_kernel_smallILi512EflPKPfEEvT1_S5_T2_lS5_lPKT0_lS6_lS5_l ; -- Begin function _ZN9rocsolver6v33100L23larf_right_kernel_smallILi512EflPKPfEEvT1_S5_T2_lS5_lPKT0_lS6_lS5_l
	.p2align	8
	.type	_ZN9rocsolver6v33100L23larf_right_kernel_smallILi512EflPKPfEEvT1_S5_T2_lS5_lPKT0_lS6_lS5_l,@function
_ZN9rocsolver6v33100L23larf_right_kernel_smallILi512EflPKPfEEvT1_S5_T2_lS5_lPKT0_lS6_lS5_l: ; @_ZN9rocsolver6v33100L23larf_right_kernel_smallILi512EflPKPfEEvT1_S5_T2_lS5_lPKT0_lS6_lS5_l
; %bb.0:
	s_load_dwordx8 s[8:15], s[4:5], 0x0
	s_load_dwordx2 s[26:27], s[4:5], 0x20
	s_load_dwordx8 s[16:23], s[4:5], 0x30
	s_mov_b32 s24, s7
	s_mov_b32 s7, 0
	s_lshl_b64 s[0:1], s[6:7], 3
	s_waitcnt lgkmcnt(0)
	s_add_u32 s2, s12, s0
	s_addc_u32 s3, s13, s1
	s_add_u32 s0, s20, s0
	v_cmp_gt_i64_e64 s[12:13], s[26:27], 0
	s_addc_u32 s1, s21, s1
	s_mov_b64 s[28:29], 0
	s_and_b64 vcc, exec, s[12:13]
	s_cbranch_vccnz .LBB38_2
; %bb.1:
	s_sub_u32 s7, 1, s10
	s_subb_u32 s12, 0, s11
	s_mul_i32 s13, s7, s27
	s_mul_hi_u32 s20, s7, s26
	s_add_i32 s13, s20, s13
	s_mul_i32 s12, s12, s26
	s_add_i32 s29, s13, s12
	s_mul_i32 s28, s7, s26
.LBB38_2:
	s_load_dwordx2 s[12:13], s[0:1], 0x0
	v_mov_b32_e32 v1, 0
	v_cmp_gt_i64_e64 s[0:1], s[10:11], v[0:1]
	s_and_saveexec_b64 s[20:21], s[0:1]
	s_cbranch_execz .LBB38_10
; %bb.3:
	s_load_dwordx2 s[30:31], s[2:3], 0x0
	v_not_b32_e32 v3, v0
	v_not_b32_e32 v2, 0
	v_mov_b32_e32 v5, s11
	v_add_co_u32_e32 v4, vcc, s10, v3
	v_addc_co_u32_e32 v5, vcc, v2, v5, vcc
	s_mov_b64 s[2:3], 0x1ff
	v_cmp_lt_u64_e32 vcc, s[2:3], v[4:5]
	s_mov_b64 s[2:3], -1
	v_pk_mov_b32 v[2:3], v[0:1], v[0:1] op_sel:[0,1]
	s_and_saveexec_b64 s[34:35], vcc
	s_cbranch_execz .LBB38_7
; %bb.4:
	s_lshl_b64 s[2:3], s[14:15], 2
	s_waitcnt lgkmcnt(0)
	s_add_u32 s7, s30, s2
	v_lshrrev_b64 v[2:3], 9, v[4:5]
	s_addc_u32 s25, s31, s3
	s_lshl_b64 s[2:3], s[28:29], 2
	v_add_co_u32_e32 v6, vcc, 1, v2
	s_add_u32 s7, s7, s2
	v_addc_co_u32_e32 v7, vcc, 0, v3, vcc
	v_or_b32_e32 v2, 0x200, v0
	v_mov_b32_e32 v3, v1
	s_addc_u32 s2, s25, s3
	v_and_b32_e32 v8, -2, v6
	v_mov_b32_e32 v9, v7
	v_pk_mov_b32 v[4:5], v[2:3], v[2:3] op_sel:[0,1]
	s_mov_b32 s25, s26
	s_mov_b32 s33, s27
	s_mov_b64 s[36:37], 0
	v_mov_b32_e32 v12, s2
	s_movk_i32 s38, 0x400
	v_pk_mov_b32 v[10:11], v[8:9], v[8:9] op_sel:[0,1]
	v_pk_mov_b32 v[2:3], v[0:1], v[0:1] op_sel:[0,1]
.LBB38_5:                               ; =>This Inner Loop Header: Depth=1
	v_mul_lo_u32 v19, v3, s26
	v_mul_lo_u32 v20, v2, s27
	v_mad_u64_u32 v[16:17], s[2:3], v2, s26, 0
	v_add3_u32 v17, v17, v20, v19
	v_mul_lo_u32 v13, v5, s25
	v_mul_lo_u32 v18, v4, s33
	v_mad_u64_u32 v[14:15], s[2:3], v4, s25, 0
	v_lshlrev_b64 v[16:17], 2, v[16:17]
	v_add3_u32 v15, v15, v18, v13
	v_add_co_u32_e32 v16, vcc, s7, v16
	v_lshlrev_b64 v[14:15], 2, v[14:15]
	v_addc_co_u32_e32 v17, vcc, v12, v17, vcc
	v_add_co_u32_e32 v14, vcc, s7, v14
	v_addc_co_u32_e32 v15, vcc, v12, v15, vcc
	global_load_dword v13, v[16:17], off
	global_load_dword v18, v[14:15], off
	v_lshlrev_b32_e32 v15, 2, v4
	v_add_co_u32_e32 v4, vcc, s38, v4
	v_add_co_u32_e64 v10, s[2:3], -2, v10
	v_addc_co_u32_e64 v11, s[2:3], -1, v11, s[2:3]
	v_addc_co_u32_e32 v5, vcc, 0, v5, vcc
	v_lshlrev_b32_e32 v14, 2, v2
	v_add_co_u32_e32 v2, vcc, 0x400, v2
	v_cmp_eq_u64_e64 s[2:3], 0, v[10:11]
	v_addc_co_u32_e32 v3, vcc, 0, v3, vcc
	s_or_b64 s[36:37], s[2:3], s[36:37]
	s_waitcnt vmcnt(1)
	ds_write_b32 v14, v13
	s_waitcnt vmcnt(0)
	ds_write_b32 v15, v18
	s_andn2_b64 exec, exec, s[36:37]
	s_cbranch_execnz .LBB38_5
; %bb.6:
	s_or_b64 exec, exec, s[36:37]
	v_lshlrev_b64 v[2:3], 9, v[8:9]
	v_cmp_ne_u64_e32 vcc, v[6:7], v[8:9]
	v_or_b32_e32 v3, 0, v3
	v_or_b32_e32 v2, v2, v0
	s_orn2_b64 s[2:3], vcc, exec
.LBB38_7:
	s_or_b64 exec, exec, s[34:35]
	s_and_b64 exec, exec, s[2:3]
	s_cbranch_execz .LBB38_10
; %bb.8:
	v_mad_u64_u32 v[4:5], s[2:3], v2, s26, 0
	s_lshl_b64 s[2:3], s[28:29], 2
	s_lshl_b64 s[14:15], s[14:15], 2
	s_waitcnt lgkmcnt(0)
	s_add_u32 s7, s30, s14
	v_mul_lo_u32 v6, v3, s26
	v_mul_lo_u32 v7, v2, s27
	s_addc_u32 s14, s31, s15
	v_add3_u32 v5, v5, v7, v6
	s_add_u32 s2, s7, s2
	v_lshlrev_b64 v[4:5], 2, v[4:5]
	s_addc_u32 s3, s14, s3
	v_mov_b32_e32 v6, s3
	v_add_co_u32_e32 v4, vcc, s2, v4
	s_lshl_b64 s[14:15], s[26:27], 11
	v_addc_co_u32_e32 v5, vcc, v6, v5, vcc
	v_lshlrev_b32_e32 v6, 2, v2
	s_mov_b64 s[26:27], 0
	v_mov_b32_e32 v7, s15
.LBB38_9:                               ; =>This Inner Loop Header: Depth=1
	global_load_dword v8, v[4:5], off
	v_add_co_u32_e32 v2, vcc, 0x200, v2
	v_addc_co_u32_e32 v3, vcc, 0, v3, vcc
	v_add_co_u32_e64 v4, s[2:3], s14, v4
	v_cmp_le_i64_e32 vcc, s[10:11], v[2:3]
	v_addc_co_u32_e64 v5, s[2:3], v5, v7, s[2:3]
	s_or_b64 s[26:27], vcc, s[26:27]
	s_waitcnt vmcnt(0)
	ds_write_b32 v6, v8
	v_add_u32_e32 v6, 0x800, v6
	s_andn2_b64 exec, exec, s[26:27]
	s_cbranch_execnz .LBB38_9
.LBB38_10:
	s_or_b64 exec, exec, s[20:21]
	s_mov_b32 s25, 0
	v_pk_mov_b32 v[2:3], s[8:9], s[8:9] op_sel:[0,1]
	v_cmp_ge_i64_e32 vcc, s[24:25], v[2:3]
	s_waitcnt lgkmcnt(0)
	s_barrier
	s_cbranch_vccnz .LBB38_30
; %bb.11:
	s_lshl_b64 s[2:3], s[22:23], 2
	s_load_dwordx2 s[20:21], s[4:5], 0x50
	s_add_u32 s22, s12, s2
	s_addc_u32 s23, s13, s3
	s_mul_i32 s2, s6, s19
	s_mul_hi_u32 s3, s6, s18
	s_add_i32 s3, s3, s2
	s_mul_i32 s2, s6, s18
	s_lshl_b64 s[2:3], s[2:3], 2
	s_add_u32 s12, s16, s2
	v_and_b32_e32 v2, 63, v0
	s_addc_u32 s13, s17, s3
	v_cmp_eq_u32_e64 s[4:5], 0, v2
	s_waitcnt lgkmcnt(0)
	v_mad_u64_u32 v[2:3], s[16:17], s20, v0, 0
	v_mov_b32_e32 v4, v3
	s_cmp_gt_i32 s10, 1
	v_mad_u64_u32 v[4:5], s[16:17], s21, v0, v[4:5]
	s_cselect_b64 s[14:15], -1, 0
	s_lshl_b32 s26, s20, 9
	s_lshl_b64 s[16:17], s[24:25], 2
	v_mov_b32_e32 v3, v4
	s_add_u32 s16, s22, s16
	v_lshlrev_b64 v[2:3], 2, v[2:3]
	s_addc_u32 s17, s23, s17
	v_mov_b32_e32 v4, s17
	v_add_co_u32_e32 v2, vcc, s16, v2
	v_addc_co_u32_e32 v3, vcc, v4, v3, vcc
	v_mbcnt_lo_u32_b32 v4, -1, 0
	v_mbcnt_hi_u32_b32 v17, -1, v4
	v_cmp_gt_i32_e64 s[2:3], s10, v0
	v_lshrrev_b32_e32 v10, 4, v0
	v_cmp_eq_u32_e64 s[6:7], 0, v0
	v_lshlrev_b32_e32 v11, 2, v0
	v_mul_lo_u32 v12, v0, s20
	s_lshl_b64 s[16:17], s[20:21], 11
	v_mov_b32_e32 v13, 0x2004
	v_mov_b32_e32 v14, 0x200c
	;; [unrolled: 1-line block ×4, first 2 shown]
	v_and_b32_e32 v18, 63, v17
	v_pk_mov_b32 v[4:5], s[8:9], s[8:9] op_sel:[0,1]
	s_branch .LBB38_13
.LBB38_12:                              ;   in Loop: Header=BB38_13 Depth=1
	s_or_b64 exec, exec, s[8:9]
	s_add_u32 s24, s24, 64
	v_add_co_u32_e32 v2, vcc, 0x100, v2
	s_addc_u32 s25, s25, 0
	v_addc_co_u32_e32 v3, vcc, 0, v3, vcc
	v_cmp_ge_i64_e32 vcc, s[24:25], v[4:5]
	s_cbranch_vccnz .LBB38_30
.LBB38_13:                              ; =>This Loop Header: Depth=1
                                        ;     Child Loop BB38_15 Depth 2
                                        ;     Child Loop BB38_29 Depth 2
	v_mov_b32_e32 v8, 0
	s_and_saveexec_b64 s[8:9], s[2:3]
	s_cbranch_execz .LBB38_17
; %bb.14:                               ;   in Loop: Header=BB38_13 Depth=1
	s_lshl_b64 s[18:19], s[24:25], 2
	s_add_u32 s20, s22, s18
	s_addc_u32 s21, s23, s19
	s_mov_b64 s[18:19], 0
	v_mov_b32_e32 v8, 0
	v_mov_b32_e32 v9, s21
	;; [unrolled: 1-line block ×5, first 2 shown]
.LBB38_15:                              ;   Parent Loop BB38_13 Depth=1
                                        ; =>  This Inner Loop Header: Depth=2
	v_ashrrev_i32_e32 v7, 31, v6
	v_lshlrev_b64 v[22:23], 2, v[6:7]
	v_add_co_u32_e32 v22, vcc, s20, v22
	v_addc_co_u32_e32 v23, vcc, v9, v23, vcc
	global_load_dword v7, v[22:23], off
	ds_read_b32 v21, v19
	v_add_u32_e32 v20, 0x200, v20
	v_cmp_le_i32_e32 vcc, s10, v20
	v_add_u32_e32 v19, 0x800, v19
	v_add_u32_e32 v6, s26, v6
	s_or_b64 s[18:19], vcc, s[18:19]
	s_waitcnt vmcnt(0) lgkmcnt(0)
	v_mul_f32_e32 v7, v21, v7
	v_add_f32_e32 v8, v8, v7
	s_andn2_b64 exec, exec, s[18:19]
	s_cbranch_execnz .LBB38_15
; %bb.16:                               ;   in Loop: Header=BB38_13 Depth=1
	s_or_b64 exec, exec, s[18:19]
.LBB38_17:                              ;   in Loop: Header=BB38_13 Depth=1
	s_or_b64 exec, exec, s[8:9]
	s_and_b64 vcc, exec, s[14:15]
	s_cbranch_vccz .LBB38_24
; %bb.18:                               ;   in Loop: Header=BB38_13 Depth=1
	v_cmp_ne_u32_e32 vcc, 63, v18
	v_addc_co_u32_e32 v6, vcc, 0, v17, vcc
	v_lshlrev_b32_e32 v6, 2, v6
	ds_bpermute_b32 v6, v6, v8
	v_cmp_gt_u32_e32 vcc, 62, v18
	v_cndmask_b32_e64 v7, 0, 1, vcc
	v_lshlrev_b32_e32 v7, 1, v7
	v_add_lshl_u32 v7, v7, v17, 2
	s_waitcnt lgkmcnt(0)
	v_add_f32_e32 v6, v8, v6
	ds_bpermute_b32 v7, v7, v6
	v_cmp_gt_u32_e32 vcc, 60, v18
	v_cndmask_b32_e64 v9, 0, 1, vcc
	v_cmp_gt_u32_e32 vcc, 56, v18
	s_waitcnt lgkmcnt(0)
	v_add_f32_e32 v6, v6, v7
	v_lshlrev_b32_e32 v7, 2, v9
	v_add_lshl_u32 v7, v7, v17, 2
	ds_bpermute_b32 v7, v7, v6
	v_cndmask_b32_e64 v9, 0, 1, vcc
	v_cmp_gt_u32_e32 vcc, 48, v18
	s_waitcnt lgkmcnt(0)
	v_add_f32_e32 v6, v6, v7
	v_lshlrev_b32_e32 v7, 3, v9
	v_add_lshl_u32 v7, v7, v17, 2
	ds_bpermute_b32 v7, v7, v6
	;; [unrolled: 7-line block ×3, first 2 shown]
	v_cndmask_b32_e64 v9, 0, 1, vcc
	s_waitcnt lgkmcnt(0)
	v_add_f32_e32 v6, v6, v7
	v_lshlrev_b32_e32 v7, 5, v9
	v_add_lshl_u32 v7, v7, v17, 2
	ds_bpermute_b32 v7, v7, v6
	s_waitcnt lgkmcnt(0)
	v_add_f32_e32 v6, v6, v7
	s_and_saveexec_b64 s[8:9], s[4:5]
	s_cbranch_execz .LBB38_20
; %bb.19:                               ;   in Loop: Header=BB38_13 Depth=1
	ds_write_b32 v10, v6 offset:8192
.LBB38_20:                              ;   in Loop: Header=BB38_13 Depth=1
	s_or_b64 exec, exec, s[8:9]
	s_mov_b64 s[18:19], 0
	s_mov_b64 s[8:9], 0
	s_waitcnt lgkmcnt(0)
	s_barrier
	s_waitcnt lgkmcnt(0)
                                        ; implicit-def: $vgpr7
	s_and_saveexec_b64 s[20:21], s[6:7]
	s_xor_b64 s[20:21], exec, s[20:21]
	s_cbranch_execz .LBB38_22
; %bb.21:                               ;   in Loop: Header=BB38_13 Depth=1
	ds_read2_b32 v[20:21], v13 offset1:1
	ds_read2_b32 v[22:23], v14 offset1:1
	;; [unrolled: 1-line block ×3, first 2 shown]
	ds_read_b32 v7, v16 offset:8220
	s_mov_b64 s[8:9], exec
	s_waitcnt lgkmcnt(3)
	v_add_f32_e32 v6, v6, v20
	v_add_f32_e32 v6, v6, v21
	s_waitcnt lgkmcnt(2)
	v_add_f32_e32 v6, v6, v22
	v_add_f32_e32 v6, v6, v23
	;; [unrolled: 3-line block ×3, first 2 shown]
	s_waitcnt lgkmcnt(0)
	v_add_f32_e32 v7, v6, v7
.LBB38_22:                              ;   in Loop: Header=BB38_13 Depth=1
	s_or_b64 exec, exec, s[20:21]
	s_and_b64 vcc, exec, s[18:19]
	s_cbranch_vccnz .LBB38_25
.LBB38_23:                              ;   in Loop: Header=BB38_13 Depth=1
	v_mov_b32_e32 v8, v7
	s_and_saveexec_b64 s[18:19], s[8:9]
	s_cbranch_execnz .LBB38_26
	s_branch .LBB38_27
.LBB38_24:                              ;   in Loop: Header=BB38_13 Depth=1
	s_mov_b64 s[8:9], 0
                                        ; implicit-def: $vgpr7
	s_cbranch_execz .LBB38_23
.LBB38_25:                              ;   in Loop: Header=BB38_13 Depth=1
	s_andn2_b64 s[8:9], s[8:9], exec
	s_and_b64 s[18:19], s[6:7], exec
	s_or_b64 s[8:9], s[8:9], s[18:19]
	s_and_saveexec_b64 s[18:19], s[8:9]
	s_cbranch_execz .LBB38_27
.LBB38_26:                              ;   in Loop: Header=BB38_13 Depth=1
	ds_write_b32 v16, v8 offset:8192
.LBB38_27:                              ;   in Loop: Header=BB38_13 Depth=1
	s_or_b64 exec, exec, s[18:19]
	s_waitcnt lgkmcnt(0)
	s_barrier
	s_and_saveexec_b64 s[8:9], s[0:1]
	s_cbranch_execz .LBB38_12
; %bb.28:                               ;   in Loop: Header=BB38_13 Depth=1
	global_load_dword v8, v16, s[12:13]
	ds_read_b32 v9, v16 offset:8192
	s_mov_b64 s[18:19], 0
	v_mov_b32_e32 v19, v11
	v_pk_mov_b32 v[6:7], v[2:3], v[2:3] op_sel:[0,1]
	s_waitcnt vmcnt(0) lgkmcnt(0)
	v_mul_f32_e64 v20, v9, -v8
	v_pk_mov_b32 v[8:9], v[0:1], v[0:1] op_sel:[0,1]
.LBB38_29:                              ;   Parent Loop BB38_13 Depth=1
                                        ; =>  This Inner Loop Header: Depth=2
	global_load_dword v21, v[6:7], off
	ds_read_b32 v22, v19
	v_add_co_u32_e32 v8, vcc, 0x200, v8
	v_addc_co_u32_e32 v9, vcc, 0, v9, vcc
	v_cmp_le_i64_e32 vcc, s[10:11], v[8:9]
	v_mov_b32_e32 v23, s17
	s_or_b64 s[18:19], vcc, s[18:19]
	v_add_u32_e32 v19, 0x800, v19
	s_waitcnt vmcnt(0) lgkmcnt(0)
	v_fmac_f32_e32 v21, v20, v22
	global_store_dword v[6:7], v21, off
	v_add_co_u32_e32 v6, vcc, s16, v6
	v_addc_co_u32_e32 v7, vcc, v7, v23, vcc
	s_andn2_b64 exec, exec, s[18:19]
	s_cbranch_execnz .LBB38_29
	s_branch .LBB38_12
.LBB38_30:
	s_endpgm
	.section	.rodata,"a",@progbits
	.p2align	6, 0x0
	.amdhsa_kernel _ZN9rocsolver6v33100L23larf_right_kernel_smallILi512EflPKPfEEvT1_S5_T2_lS5_lPKT0_lS6_lS5_l
		.amdhsa_group_segment_fixed_size 8224
		.amdhsa_private_segment_fixed_size 0
		.amdhsa_kernarg_size 96
		.amdhsa_user_sgpr_count 6
		.amdhsa_user_sgpr_private_segment_buffer 1
		.amdhsa_user_sgpr_dispatch_ptr 0
		.amdhsa_user_sgpr_queue_ptr 0
		.amdhsa_user_sgpr_kernarg_segment_ptr 1
		.amdhsa_user_sgpr_dispatch_id 0
		.amdhsa_user_sgpr_flat_scratch_init 0
		.amdhsa_user_sgpr_kernarg_preload_length 0
		.amdhsa_user_sgpr_kernarg_preload_offset 0
		.amdhsa_user_sgpr_private_segment_size 0
		.amdhsa_uses_dynamic_stack 0
		.amdhsa_system_sgpr_private_segment_wavefront_offset 0
		.amdhsa_system_sgpr_workgroup_id_x 1
		.amdhsa_system_sgpr_workgroup_id_y 1
		.amdhsa_system_sgpr_workgroup_id_z 0
		.amdhsa_system_sgpr_workgroup_info 0
		.amdhsa_system_vgpr_workitem_id 0
		.amdhsa_next_free_vgpr 26
		.amdhsa_next_free_sgpr 39
		.amdhsa_accum_offset 28
		.amdhsa_reserve_vcc 1
		.amdhsa_reserve_flat_scratch 0
		.amdhsa_float_round_mode_32 0
		.amdhsa_float_round_mode_16_64 0
		.amdhsa_float_denorm_mode_32 3
		.amdhsa_float_denorm_mode_16_64 3
		.amdhsa_dx10_clamp 1
		.amdhsa_ieee_mode 1
		.amdhsa_fp16_overflow 0
		.amdhsa_tg_split 0
		.amdhsa_exception_fp_ieee_invalid_op 0
		.amdhsa_exception_fp_denorm_src 0
		.amdhsa_exception_fp_ieee_div_zero 0
		.amdhsa_exception_fp_ieee_overflow 0
		.amdhsa_exception_fp_ieee_underflow 0
		.amdhsa_exception_fp_ieee_inexact 0
		.amdhsa_exception_int_div_zero 0
	.end_amdhsa_kernel
	.section	.text._ZN9rocsolver6v33100L23larf_right_kernel_smallILi512EflPKPfEEvT1_S5_T2_lS5_lPKT0_lS6_lS5_l,"axG",@progbits,_ZN9rocsolver6v33100L23larf_right_kernel_smallILi512EflPKPfEEvT1_S5_T2_lS5_lPKT0_lS6_lS5_l,comdat
.Lfunc_end38:
	.size	_ZN9rocsolver6v33100L23larf_right_kernel_smallILi512EflPKPfEEvT1_S5_T2_lS5_lPKT0_lS6_lS5_l, .Lfunc_end38-_ZN9rocsolver6v33100L23larf_right_kernel_smallILi512EflPKPfEEvT1_S5_T2_lS5_lPKT0_lS6_lS5_l
                                        ; -- End function
	.section	.AMDGPU.csdata,"",@progbits
; Kernel info:
; codeLenInByte = 1736
; NumSgprs: 43
; NumVgprs: 26
; NumAgprs: 0
; TotalNumVgprs: 26
; ScratchSize: 0
; MemoryBound: 0
; FloatMode: 240
; IeeeMode: 1
; LDSByteSize: 8224 bytes/workgroup (compile time only)
; SGPRBlocks: 5
; VGPRBlocks: 3
; NumSGPRsForWavesPerEU: 43
; NumVGPRsForWavesPerEU: 26
; AccumOffset: 28
; Occupancy: 8
; WaveLimiterHint : 1
; COMPUTE_PGM_RSRC2:SCRATCH_EN: 0
; COMPUTE_PGM_RSRC2:USER_SGPR: 6
; COMPUTE_PGM_RSRC2:TRAP_HANDLER: 0
; COMPUTE_PGM_RSRC2:TGID_X_EN: 1
; COMPUTE_PGM_RSRC2:TGID_Y_EN: 1
; COMPUTE_PGM_RSRC2:TGID_Z_EN: 0
; COMPUTE_PGM_RSRC2:TIDIG_COMP_CNT: 0
; COMPUTE_PGM_RSRC3_GFX90A:ACCUM_OFFSET: 6
; COMPUTE_PGM_RSRC3_GFX90A:TG_SPLIT: 0
	.section	.text._ZN9rocsolver6v33100L23larf_right_kernel_smallILi1024EflPKPfEEvT1_S5_T2_lS5_lPKT0_lS6_lS5_l,"axG",@progbits,_ZN9rocsolver6v33100L23larf_right_kernel_smallILi1024EflPKPfEEvT1_S5_T2_lS5_lPKT0_lS6_lS5_l,comdat
	.globl	_ZN9rocsolver6v33100L23larf_right_kernel_smallILi1024EflPKPfEEvT1_S5_T2_lS5_lPKT0_lS6_lS5_l ; -- Begin function _ZN9rocsolver6v33100L23larf_right_kernel_smallILi1024EflPKPfEEvT1_S5_T2_lS5_lPKT0_lS6_lS5_l
	.p2align	8
	.type	_ZN9rocsolver6v33100L23larf_right_kernel_smallILi1024EflPKPfEEvT1_S5_T2_lS5_lPKT0_lS6_lS5_l,@function
_ZN9rocsolver6v33100L23larf_right_kernel_smallILi1024EflPKPfEEvT1_S5_T2_lS5_lPKT0_lS6_lS5_l: ; @_ZN9rocsolver6v33100L23larf_right_kernel_smallILi1024EflPKPfEEvT1_S5_T2_lS5_lPKT0_lS6_lS5_l
; %bb.0:
	s_load_dwordx8 s[8:15], s[4:5], 0x0
	s_load_dwordx2 s[26:27], s[4:5], 0x20
	s_load_dwordx8 s[16:23], s[4:5], 0x30
	s_mov_b32 s24, s7
	s_mov_b32 s7, 0
	s_lshl_b64 s[0:1], s[6:7], 3
	s_waitcnt lgkmcnt(0)
	s_add_u32 s2, s12, s0
	s_addc_u32 s3, s13, s1
	s_add_u32 s0, s20, s0
	v_cmp_gt_i64_e64 s[12:13], s[26:27], 0
	s_addc_u32 s1, s21, s1
	s_mov_b64 s[28:29], 0
	s_and_b64 vcc, exec, s[12:13]
	s_cbranch_vccnz .LBB39_2
; %bb.1:
	s_sub_u32 s7, 1, s10
	s_subb_u32 s12, 0, s11
	s_mul_i32 s13, s7, s27
	s_mul_hi_u32 s20, s7, s26
	s_add_i32 s13, s20, s13
	s_mul_i32 s12, s12, s26
	s_add_i32 s29, s13, s12
	s_mul_i32 s28, s7, s26
.LBB39_2:
	s_load_dwordx2 s[12:13], s[0:1], 0x0
	v_mov_b32_e32 v1, 0
	v_cmp_gt_i64_e64 s[0:1], s[10:11], v[0:1]
	s_and_saveexec_b64 s[20:21], s[0:1]
	s_cbranch_execz .LBB39_10
; %bb.3:
	s_load_dwordx2 s[30:31], s[2:3], 0x0
	v_not_b32_e32 v3, v0
	v_not_b32_e32 v2, 0
	v_mov_b32_e32 v5, s11
	v_add_co_u32_e32 v4, vcc, s10, v3
	v_addc_co_u32_e32 v5, vcc, v2, v5, vcc
	s_mov_b64 s[2:3], 0x3ff
	v_cmp_lt_u64_e32 vcc, s[2:3], v[4:5]
	s_mov_b64 s[2:3], -1
	v_pk_mov_b32 v[2:3], v[0:1], v[0:1] op_sel:[0,1]
	s_and_saveexec_b64 s[34:35], vcc
	s_cbranch_execz .LBB39_7
; %bb.4:
	s_lshl_b64 s[2:3], s[14:15], 2
	s_waitcnt lgkmcnt(0)
	s_add_u32 s7, s30, s2
	v_lshrrev_b64 v[2:3], 10, v[4:5]
	s_addc_u32 s25, s31, s3
	s_lshl_b64 s[2:3], s[28:29], 2
	v_add_co_u32_e32 v6, vcc, 1, v2
	s_add_u32 s7, s7, s2
	v_addc_co_u32_e32 v7, vcc, 0, v3, vcc
	v_or_b32_e32 v2, 0x400, v0
	v_mov_b32_e32 v3, v1
	s_addc_u32 s2, s25, s3
	v_and_b32_e32 v8, -2, v6
	v_mov_b32_e32 v9, v7
	v_pk_mov_b32 v[4:5], v[2:3], v[2:3] op_sel:[0,1]
	s_mov_b32 s25, s26
	s_mov_b32 s33, s27
	s_mov_b64 s[36:37], 0
	v_mov_b32_e32 v12, s2
	s_movk_i32 s38, 0x800
	v_pk_mov_b32 v[10:11], v[8:9], v[8:9] op_sel:[0,1]
	v_pk_mov_b32 v[2:3], v[0:1], v[0:1] op_sel:[0,1]
.LBB39_5:                               ; =>This Inner Loop Header: Depth=1
	v_mul_lo_u32 v19, v3, s26
	v_mul_lo_u32 v20, v2, s27
	v_mad_u64_u32 v[16:17], s[2:3], v2, s26, 0
	v_add3_u32 v17, v17, v20, v19
	v_mul_lo_u32 v13, v5, s25
	v_mul_lo_u32 v18, v4, s33
	v_mad_u64_u32 v[14:15], s[2:3], v4, s25, 0
	v_lshlrev_b64 v[16:17], 2, v[16:17]
	v_add3_u32 v15, v15, v18, v13
	v_add_co_u32_e32 v16, vcc, s7, v16
	v_lshlrev_b64 v[14:15], 2, v[14:15]
	v_addc_co_u32_e32 v17, vcc, v12, v17, vcc
	v_add_co_u32_e32 v14, vcc, s7, v14
	v_addc_co_u32_e32 v15, vcc, v12, v15, vcc
	global_load_dword v13, v[16:17], off
	global_load_dword v18, v[14:15], off
	v_lshlrev_b32_e32 v15, 2, v4
	v_add_co_u32_e32 v4, vcc, s38, v4
	v_add_co_u32_e64 v10, s[2:3], -2, v10
	v_addc_co_u32_e64 v11, s[2:3], -1, v11, s[2:3]
	v_addc_co_u32_e32 v5, vcc, 0, v5, vcc
	v_lshlrev_b32_e32 v14, 2, v2
	v_add_co_u32_e32 v2, vcc, 0x800, v2
	v_cmp_eq_u64_e64 s[2:3], 0, v[10:11]
	v_addc_co_u32_e32 v3, vcc, 0, v3, vcc
	s_or_b64 s[36:37], s[2:3], s[36:37]
	s_waitcnt vmcnt(1)
	ds_write_b32 v14, v13
	s_waitcnt vmcnt(0)
	ds_write_b32 v15, v18
	s_andn2_b64 exec, exec, s[36:37]
	s_cbranch_execnz .LBB39_5
; %bb.6:
	s_or_b64 exec, exec, s[36:37]
	v_lshlrev_b64 v[2:3], 10, v[8:9]
	v_cmp_ne_u64_e32 vcc, v[6:7], v[8:9]
	v_or_b32_e32 v3, 0, v3
	v_or_b32_e32 v2, v2, v0
	s_orn2_b64 s[2:3], vcc, exec
.LBB39_7:
	s_or_b64 exec, exec, s[34:35]
	s_and_b64 exec, exec, s[2:3]
	s_cbranch_execz .LBB39_10
; %bb.8:
	v_mad_u64_u32 v[4:5], s[2:3], v2, s26, 0
	s_lshl_b64 s[2:3], s[28:29], 2
	s_lshl_b64 s[14:15], s[14:15], 2
	s_waitcnt lgkmcnt(0)
	s_add_u32 s7, s30, s14
	v_mul_lo_u32 v6, v3, s26
	v_mul_lo_u32 v7, v2, s27
	s_addc_u32 s14, s31, s15
	v_add3_u32 v5, v5, v7, v6
	s_add_u32 s2, s7, s2
	v_lshlrev_b64 v[4:5], 2, v[4:5]
	s_addc_u32 s3, s14, s3
	v_mov_b32_e32 v6, s3
	v_add_co_u32_e32 v4, vcc, s2, v4
	s_lshl_b64 s[14:15], s[26:27], 12
	v_addc_co_u32_e32 v5, vcc, v6, v5, vcc
	v_lshlrev_b32_e32 v6, 2, v2
	s_mov_b64 s[26:27], 0
	v_mov_b32_e32 v7, s15
.LBB39_9:                               ; =>This Inner Loop Header: Depth=1
	global_load_dword v8, v[4:5], off
	v_add_co_u32_e32 v2, vcc, 0x400, v2
	v_addc_co_u32_e32 v3, vcc, 0, v3, vcc
	v_add_co_u32_e64 v4, s[2:3], s14, v4
	v_cmp_le_i64_e32 vcc, s[10:11], v[2:3]
	v_addc_co_u32_e64 v5, s[2:3], v5, v7, s[2:3]
	s_or_b64 s[26:27], vcc, s[26:27]
	s_waitcnt vmcnt(0)
	ds_write_b32 v6, v8
	v_add_u32_e32 v6, 0x1000, v6
	s_andn2_b64 exec, exec, s[26:27]
	s_cbranch_execnz .LBB39_9
.LBB39_10:
	s_or_b64 exec, exec, s[20:21]
	s_mov_b32 s25, 0
	v_pk_mov_b32 v[2:3], s[8:9], s[8:9] op_sel:[0,1]
	v_cmp_ge_i64_e32 vcc, s[24:25], v[2:3]
	s_waitcnt lgkmcnt(0)
	s_barrier
	s_cbranch_vccnz .LBB39_30
; %bb.11:
	s_lshl_b64 s[2:3], s[22:23], 2
	s_load_dwordx2 s[20:21], s[4:5], 0x50
	s_add_u32 s26, s12, s2
	s_addc_u32 s27, s13, s3
	s_mul_i32 s2, s6, s19
	s_mul_hi_u32 s3, s6, s18
	s_add_i32 s3, s3, s2
	s_mul_i32 s2, s6, s18
	s_lshl_b64 s[2:3], s[2:3], 2
	s_add_u32 s12, s16, s2
	v_and_b32_e32 v2, 63, v0
	s_addc_u32 s13, s17, s3
	v_cmp_eq_u32_e64 s[4:5], 0, v2
	s_waitcnt lgkmcnt(0)
	v_mad_u64_u32 v[2:3], s[16:17], s20, v0, 0
	v_mov_b32_e32 v4, v3
	s_cmp_gt_i32 s10, 1
	v_mad_u64_u32 v[4:5], s[16:17], s21, v0, v[4:5]
	s_cselect_b64 s[14:15], -1, 0
	s_lshl_b32 s28, s20, 10
	s_lshl_b64 s[16:17], s[24:25], 2
	v_mov_b32_e32 v3, v4
	s_add_u32 s16, s26, s16
	v_lshlrev_b64 v[2:3], 2, v[2:3]
	s_addc_u32 s17, s27, s17
	v_mov_b32_e32 v4, s17
	v_add_co_u32_e32 v2, vcc, s16, v2
	v_addc_co_u32_e32 v3, vcc, v4, v3, vcc
	v_mbcnt_lo_u32_b32 v4, -1, 0
	v_mbcnt_hi_u32_b32 v19, -1, v4
	v_cmp_gt_i32_e64 s[2:3], s10, v0
	v_lshrrev_b32_e32 v8, 4, v0
	v_cmp_eq_u32_e64 s[6:7], 0, v0
	v_lshlrev_b32_e32 v9, 2, v0
	v_mul_lo_u32 v10, v0, s20
	s_lshl_b64 s[16:17], s[20:21], 12
	v_mov_b32_e32 v11, 0x2004
	v_mov_b32_e32 v12, 0x200c
	;; [unrolled: 1-line block ×8, first 2 shown]
	v_and_b32_e32 v20, 63, v19
	s_branch .LBB39_13
.LBB39_12:                              ;   in Loop: Header=BB39_13 Depth=1
	s_or_b64 exec, exec, s[18:19]
	s_add_u32 s24, s24, 64
	v_add_co_u32_e32 v2, vcc, 0x100, v2
	s_addc_u32 s25, s25, 0
	v_addc_co_u32_e32 v3, vcc, 0, v3, vcc
	v_pk_mov_b32 v[4:5], s[8:9], s[8:9] op_sel:[0,1]
	v_cmp_ge_i64_e32 vcc, s[24:25], v[4:5]
	s_cbranch_vccnz .LBB39_30
.LBB39_13:                              ; =>This Loop Header: Depth=1
                                        ;     Child Loop BB39_15 Depth 2
                                        ;     Child Loop BB39_29 Depth 2
	v_mov_b32_e32 v6, 0
	s_and_saveexec_b64 s[18:19], s[2:3]
	s_cbranch_execz .LBB39_17
; %bb.14:                               ;   in Loop: Header=BB39_13 Depth=1
	s_lshl_b64 s[20:21], s[24:25], 2
	s_add_u32 s22, s26, s20
	s_addc_u32 s23, s27, s21
	s_mov_b64 s[20:21], 0
	v_mov_b32_e32 v6, 0
	v_mov_b32_e32 v7, s23
	v_mov_b32_e32 v4, v10
	v_mov_b32_e32 v21, v9
	v_mov_b32_e32 v22, v0
.LBB39_15:                              ;   Parent Loop BB39_13 Depth=1
                                        ; =>  This Inner Loop Header: Depth=2
	v_ashrrev_i32_e32 v5, 31, v4
	v_lshlrev_b64 v[24:25], 2, v[4:5]
	v_add_co_u32_e32 v24, vcc, s22, v24
	v_addc_co_u32_e32 v25, vcc, v7, v25, vcc
	global_load_dword v5, v[24:25], off
	ds_read_b32 v23, v21
	v_add_u32_e32 v22, 0x400, v22
	v_cmp_le_i32_e32 vcc, s10, v22
	v_add_u32_e32 v21, 0x1000, v21
	v_add_u32_e32 v4, s28, v4
	s_or_b64 s[20:21], vcc, s[20:21]
	s_waitcnt vmcnt(0) lgkmcnt(0)
	v_mul_f32_e32 v5, v23, v5
	v_add_f32_e32 v6, v6, v5
	s_andn2_b64 exec, exec, s[20:21]
	s_cbranch_execnz .LBB39_15
; %bb.16:                               ;   in Loop: Header=BB39_13 Depth=1
	s_or_b64 exec, exec, s[20:21]
.LBB39_17:                              ;   in Loop: Header=BB39_13 Depth=1
	s_or_b64 exec, exec, s[18:19]
	s_and_b64 vcc, exec, s[14:15]
	s_cbranch_vccz .LBB39_24
; %bb.18:                               ;   in Loop: Header=BB39_13 Depth=1
	v_cmp_ne_u32_e32 vcc, 63, v20
	v_addc_co_u32_e32 v4, vcc, 0, v19, vcc
	v_lshlrev_b32_e32 v4, 2, v4
	ds_bpermute_b32 v4, v4, v6
	v_cmp_gt_u32_e32 vcc, 62, v20
	v_cndmask_b32_e64 v5, 0, 1, vcc
	v_lshlrev_b32_e32 v5, 1, v5
	v_add_lshl_u32 v5, v5, v19, 2
	s_waitcnt lgkmcnt(0)
	v_add_f32_e32 v4, v6, v4
	ds_bpermute_b32 v5, v5, v4
	v_cmp_gt_u32_e32 vcc, 60, v20
	v_cndmask_b32_e64 v7, 0, 1, vcc
	v_cmp_gt_u32_e32 vcc, 56, v20
	s_waitcnt lgkmcnt(0)
	v_add_f32_e32 v4, v4, v5
	v_lshlrev_b32_e32 v5, 2, v7
	v_add_lshl_u32 v5, v5, v19, 2
	ds_bpermute_b32 v5, v5, v4
	v_cndmask_b32_e64 v7, 0, 1, vcc
	v_cmp_gt_u32_e32 vcc, 48, v20
	s_waitcnt lgkmcnt(0)
	v_add_f32_e32 v4, v4, v5
	v_lshlrev_b32_e32 v5, 3, v7
	v_add_lshl_u32 v5, v5, v19, 2
	ds_bpermute_b32 v5, v5, v4
	;; [unrolled: 7-line block ×3, first 2 shown]
	v_cndmask_b32_e64 v7, 0, 1, vcc
	s_waitcnt lgkmcnt(0)
	v_add_f32_e32 v4, v4, v5
	v_lshlrev_b32_e32 v5, 5, v7
	v_add_lshl_u32 v5, v5, v19, 2
	ds_bpermute_b32 v5, v5, v4
	s_waitcnt lgkmcnt(0)
	v_add_f32_e32 v4, v4, v5
	s_and_saveexec_b64 s[18:19], s[4:5]
	s_cbranch_execz .LBB39_20
; %bb.19:                               ;   in Loop: Header=BB39_13 Depth=1
	ds_write_b32 v8, v4 offset:8192
.LBB39_20:                              ;   in Loop: Header=BB39_13 Depth=1
	s_or_b64 exec, exec, s[18:19]
	s_mov_b64 s[20:21], 0
	s_mov_b64 s[18:19], 0
	s_waitcnt lgkmcnt(0)
	s_barrier
	s_waitcnt lgkmcnt(0)
                                        ; implicit-def: $vgpr5
	s_and_saveexec_b64 s[22:23], s[6:7]
	s_xor_b64 s[22:23], exec, s[22:23]
	s_cbranch_execz .LBB39_22
; %bb.21:                               ;   in Loop: Header=BB39_13 Depth=1
	ds_read2_b32 v[22:23], v11 offset1:1
	ds_read2_b32 v[24:25], v12 offset1:1
	;; [unrolled: 1-line block ×4, first 2 shown]
	s_mov_b64 s[18:19], exec
	s_waitcnt lgkmcnt(3)
	v_add_f32_e32 v4, v4, v22
	v_add_f32_e32 v4, v4, v23
	s_waitcnt lgkmcnt(2)
	v_add_f32_e32 v4, v4, v24
	v_add_f32_e32 v4, v4, v25
	;; [unrolled: 3-line block ×3, first 2 shown]
	s_waitcnt lgkmcnt(0)
	v_add_f32_e32 v7, v4, v28
	ds_read2_b32 v[4:5], v15 offset1:1
	v_add_f32_e32 v7, v7, v29
	ds_read2_b32 v[22:23], v16 offset1:1
	ds_read2_b32 v[24:25], v17 offset1:1
	ds_read_b32 v21, v18 offset:8252
	s_waitcnt lgkmcnt(3)
	v_add_f32_e32 v4, v7, v4
	v_add_f32_e32 v4, v4, v5
	s_waitcnt lgkmcnt(2)
	v_add_f32_e32 v4, v4, v22
	v_add_f32_e32 v4, v4, v23
	;; [unrolled: 3-line block ×3, first 2 shown]
	s_waitcnt lgkmcnt(0)
	v_add_f32_e32 v5, v4, v21
.LBB39_22:                              ;   in Loop: Header=BB39_13 Depth=1
	s_or_b64 exec, exec, s[22:23]
	s_and_b64 vcc, exec, s[20:21]
	s_cbranch_vccnz .LBB39_25
.LBB39_23:                              ;   in Loop: Header=BB39_13 Depth=1
	v_mov_b32_e32 v6, v5
	s_and_saveexec_b64 s[20:21], s[18:19]
	s_cbranch_execnz .LBB39_26
	s_branch .LBB39_27
.LBB39_24:                              ;   in Loop: Header=BB39_13 Depth=1
	s_mov_b64 s[18:19], 0
                                        ; implicit-def: $vgpr5
	s_cbranch_execz .LBB39_23
.LBB39_25:                              ;   in Loop: Header=BB39_13 Depth=1
	s_andn2_b64 s[18:19], s[18:19], exec
	s_and_b64 s[20:21], s[6:7], exec
	s_or_b64 s[18:19], s[18:19], s[20:21]
	s_and_saveexec_b64 s[20:21], s[18:19]
	s_cbranch_execz .LBB39_27
.LBB39_26:                              ;   in Loop: Header=BB39_13 Depth=1
	ds_write_b32 v18, v6 offset:8192
.LBB39_27:                              ;   in Loop: Header=BB39_13 Depth=1
	s_or_b64 exec, exec, s[20:21]
	s_waitcnt lgkmcnt(0)
	s_barrier
	s_and_saveexec_b64 s[18:19], s[0:1]
	s_cbranch_execz .LBB39_12
; %bb.28:                               ;   in Loop: Header=BB39_13 Depth=1
	global_load_dword v6, v18, s[12:13]
	ds_read_b32 v7, v18 offset:8192
	s_mov_b64 s[20:21], 0
	v_mov_b32_e32 v21, v9
	v_pk_mov_b32 v[4:5], v[2:3], v[2:3] op_sel:[0,1]
	s_waitcnt vmcnt(0) lgkmcnt(0)
	v_mul_f32_e64 v22, v7, -v6
	v_pk_mov_b32 v[6:7], v[0:1], v[0:1] op_sel:[0,1]
.LBB39_29:                              ;   Parent Loop BB39_13 Depth=1
                                        ; =>  This Inner Loop Header: Depth=2
	global_load_dword v23, v[4:5], off
	ds_read_b32 v24, v21
	v_add_co_u32_e32 v6, vcc, 0x400, v6
	v_addc_co_u32_e32 v7, vcc, 0, v7, vcc
	v_cmp_le_i64_e32 vcc, s[10:11], v[6:7]
	v_mov_b32_e32 v25, s17
	s_or_b64 s[20:21], vcc, s[20:21]
	v_add_u32_e32 v21, 0x1000, v21
	s_waitcnt vmcnt(0) lgkmcnt(0)
	v_fmac_f32_e32 v23, v22, v24
	global_store_dword v[4:5], v23, off
	v_add_co_u32_e32 v4, vcc, s16, v4
	v_addc_co_u32_e32 v5, vcc, v5, v25, vcc
	s_andn2_b64 exec, exec, s[20:21]
	s_cbranch_execnz .LBB39_29
	s_branch .LBB39_12
.LBB39_30:
	s_endpgm
	.section	.rodata,"a",@progbits
	.p2align	6, 0x0
	.amdhsa_kernel _ZN9rocsolver6v33100L23larf_right_kernel_smallILi1024EflPKPfEEvT1_S5_T2_lS5_lPKT0_lS6_lS5_l
		.amdhsa_group_segment_fixed_size 8256
		.amdhsa_private_segment_fixed_size 0
		.amdhsa_kernarg_size 96
		.amdhsa_user_sgpr_count 6
		.amdhsa_user_sgpr_private_segment_buffer 1
		.amdhsa_user_sgpr_dispatch_ptr 0
		.amdhsa_user_sgpr_queue_ptr 0
		.amdhsa_user_sgpr_kernarg_segment_ptr 1
		.amdhsa_user_sgpr_dispatch_id 0
		.amdhsa_user_sgpr_flat_scratch_init 0
		.amdhsa_user_sgpr_kernarg_preload_length 0
		.amdhsa_user_sgpr_kernarg_preload_offset 0
		.amdhsa_user_sgpr_private_segment_size 0
		.amdhsa_uses_dynamic_stack 0
		.amdhsa_system_sgpr_private_segment_wavefront_offset 0
		.amdhsa_system_sgpr_workgroup_id_x 1
		.amdhsa_system_sgpr_workgroup_id_y 1
		.amdhsa_system_sgpr_workgroup_id_z 0
		.amdhsa_system_sgpr_workgroup_info 0
		.amdhsa_system_vgpr_workitem_id 0
		.amdhsa_next_free_vgpr 30
		.amdhsa_next_free_sgpr 39
		.amdhsa_accum_offset 32
		.amdhsa_reserve_vcc 1
		.amdhsa_reserve_flat_scratch 0
		.amdhsa_float_round_mode_32 0
		.amdhsa_float_round_mode_16_64 0
		.amdhsa_float_denorm_mode_32 3
		.amdhsa_float_denorm_mode_16_64 3
		.amdhsa_dx10_clamp 1
		.amdhsa_ieee_mode 1
		.amdhsa_fp16_overflow 0
		.amdhsa_tg_split 0
		.amdhsa_exception_fp_ieee_invalid_op 0
		.amdhsa_exception_fp_denorm_src 0
		.amdhsa_exception_fp_ieee_div_zero 0
		.amdhsa_exception_fp_ieee_overflow 0
		.amdhsa_exception_fp_ieee_underflow 0
		.amdhsa_exception_fp_ieee_inexact 0
		.amdhsa_exception_int_div_zero 0
	.end_amdhsa_kernel
	.section	.text._ZN9rocsolver6v33100L23larf_right_kernel_smallILi1024EflPKPfEEvT1_S5_T2_lS5_lPKT0_lS6_lS5_l,"axG",@progbits,_ZN9rocsolver6v33100L23larf_right_kernel_smallILi1024EflPKPfEEvT1_S5_T2_lS5_lPKT0_lS6_lS5_l,comdat
.Lfunc_end39:
	.size	_ZN9rocsolver6v33100L23larf_right_kernel_smallILi1024EflPKPfEEvT1_S5_T2_lS5_lPKT0_lS6_lS5_l, .Lfunc_end39-_ZN9rocsolver6v33100L23larf_right_kernel_smallILi1024EflPKPfEEvT1_S5_T2_lS5_lPKT0_lS6_lS5_l
                                        ; -- End function
	.section	.AMDGPU.csdata,"",@progbits
; Kernel info:
; codeLenInByte = 1848
; NumSgprs: 43
; NumVgprs: 30
; NumAgprs: 0
; TotalNumVgprs: 30
; ScratchSize: 0
; MemoryBound: 0
; FloatMode: 240
; IeeeMode: 1
; LDSByteSize: 8256 bytes/workgroup (compile time only)
; SGPRBlocks: 5
; VGPRBlocks: 3
; NumSGPRsForWavesPerEU: 43
; NumVGPRsForWavesPerEU: 30
; AccumOffset: 32
; Occupancy: 8
; WaveLimiterHint : 1
; COMPUTE_PGM_RSRC2:SCRATCH_EN: 0
; COMPUTE_PGM_RSRC2:USER_SGPR: 6
; COMPUTE_PGM_RSRC2:TRAP_HANDLER: 0
; COMPUTE_PGM_RSRC2:TGID_X_EN: 1
; COMPUTE_PGM_RSRC2:TGID_Y_EN: 1
; COMPUTE_PGM_RSRC2:TGID_Z_EN: 0
; COMPUTE_PGM_RSRC2:TIDIG_COMP_CNT: 0
; COMPUTE_PGM_RSRC3_GFX90A:ACCUM_OFFSET: 7
; COMPUTE_PGM_RSRC3_GFX90A:TG_SPLIT: 0
	.text
	.p2alignl 6, 3212836864
	.fill 256, 4, 3212836864
	.type	__hip_cuid_4db56eda25b95815,@object ; @__hip_cuid_4db56eda25b95815
	.section	.bss,"aw",@nobits
	.globl	__hip_cuid_4db56eda25b95815
__hip_cuid_4db56eda25b95815:
	.byte	0                               ; 0x0
	.size	__hip_cuid_4db56eda25b95815, 1

	.ident	"AMD clang version 19.0.0git (https://github.com/RadeonOpenCompute/llvm-project roc-6.4.0 25133 c7fe45cf4b819c5991fe208aaa96edf142730f1d)"
	.section	".note.GNU-stack","",@progbits
	.addrsig
	.addrsig_sym __hip_cuid_4db56eda25b95815
	.amdgpu_metadata
---
amdhsa.kernels:
  - .agpr_count:     0
    .args:
      - .offset:         0
        .size:           4
        .value_kind:     by_value
      - .offset:         4
        .size:           4
        .value_kind:     by_value
      - .address_space:  global
        .offset:         8
        .size:           8
        .value_kind:     global_buffer
      - .offset:         16
        .size:           8
        .value_kind:     by_value
      - .offset:         24
        .size:           4
        .value_kind:     by_value
      - .offset:         32
        .size:           8
        .value_kind:     by_value
      - .address_space:  global
        .offset:         40
        .size:           8
        .value_kind:     global_buffer
      - .offset:         48
        .size:           8
        .value_kind:     by_value
      - .address_space:  global
        .offset:         56
        .size:           8
        .value_kind:     global_buffer
      - .offset:         64
        .size:           8
        .value_kind:     by_value
      - .offset:         72
        .size:           4
        .value_kind:     by_value
      - .offset:         80
        .size:           8
        .value_kind:     by_value
    .group_segment_fixed_size: 8448
    .kernarg_segment_align: 8
    .kernarg_segment_size: 88
    .language:       OpenCL C
    .language_version:
      - 2
      - 0
    .max_flat_workgroup_size: 64
    .name:           _ZN9rocsolver6v33100L22larf_left_kernel_smallILi64EfiPfEEvT1_S3_T2_lS3_lPKT0_lS4_lS3_l
    .private_segment_fixed_size: 0
    .sgpr_count:     47
    .sgpr_spill_count: 0
    .symbol:         _ZN9rocsolver6v33100L22larf_left_kernel_smallILi64EfiPfEEvT1_S3_T2_lS3_lPKT0_lS4_lS3_l.kd
    .uniform_work_group_size: 1
    .uses_dynamic_stack: false
    .vgpr_count:     44
    .vgpr_spill_count: 0
    .wavefront_size: 64
  - .agpr_count:     0
    .args:
      - .offset:         0
        .size:           4
        .value_kind:     by_value
      - .offset:         4
        .size:           4
        .value_kind:     by_value
      - .address_space:  global
        .offset:         8
        .size:           8
        .value_kind:     global_buffer
      - .offset:         16
        .size:           8
        .value_kind:     by_value
      - .offset:         24
        .size:           4
        .value_kind:     by_value
      - .offset:         32
        .size:           8
        .value_kind:     by_value
      - .address_space:  global
        .offset:         40
        .size:           8
        .value_kind:     global_buffer
      - .offset:         48
        .size:           8
        .value_kind:     by_value
      - .address_space:  global
        .offset:         56
        .size:           8
        .value_kind:     global_buffer
      - .offset:         64
        .size:           8
        .value_kind:     by_value
      - .offset:         72
        .size:           4
        .value_kind:     by_value
      - .offset:         80
        .size:           8
        .value_kind:     by_value
    .group_segment_fixed_size: 8704
    .kernarg_segment_align: 8
    .kernarg_segment_size: 88
    .language:       OpenCL C
    .language_version:
      - 2
      - 0
    .max_flat_workgroup_size: 128
    .name:           _ZN9rocsolver6v33100L22larf_left_kernel_smallILi128EfiPfEEvT1_S3_T2_lS3_lPKT0_lS4_lS3_l
    .private_segment_fixed_size: 0
    .sgpr_count:     49
    .sgpr_spill_count: 0
    .symbol:         _ZN9rocsolver6v33100L22larf_left_kernel_smallILi128EfiPfEEvT1_S3_T2_lS3_lPKT0_lS4_lS3_l.kd
    .uniform_work_group_size: 1
    .uses_dynamic_stack: false
    .vgpr_count:     38
    .vgpr_spill_count: 0
    .wavefront_size: 64
  - .agpr_count:     0
    .args:
      - .offset:         0
        .size:           4
        .value_kind:     by_value
      - .offset:         4
        .size:           4
        .value_kind:     by_value
      - .address_space:  global
        .offset:         8
        .size:           8
        .value_kind:     global_buffer
      - .offset:         16
        .size:           8
        .value_kind:     by_value
      - .offset:         24
        .size:           4
        .value_kind:     by_value
      - .offset:         32
        .size:           8
        .value_kind:     by_value
      - .address_space:  global
        .offset:         40
        .size:           8
        .value_kind:     global_buffer
      - .offset:         48
        .size:           8
        .value_kind:     by_value
      - .address_space:  global
        .offset:         56
        .size:           8
        .value_kind:     global_buffer
      - .offset:         64
        .size:           8
        .value_kind:     by_value
      - .offset:         72
        .size:           4
        .value_kind:     by_value
      - .offset:         80
        .size:           8
        .value_kind:     by_value
    .group_segment_fixed_size: 9216
    .kernarg_segment_align: 8
    .kernarg_segment_size: 88
    .language:       OpenCL C
    .language_version:
      - 2
      - 0
    .max_flat_workgroup_size: 256
    .name:           _ZN9rocsolver6v33100L22larf_left_kernel_smallILi256EfiPfEEvT1_S3_T2_lS3_lPKT0_lS4_lS3_l
    .private_segment_fixed_size: 0
    .sgpr_count:     49
    .sgpr_spill_count: 0
    .symbol:         _ZN9rocsolver6v33100L22larf_left_kernel_smallILi256EfiPfEEvT1_S3_T2_lS3_lPKT0_lS4_lS3_l.kd
    .uniform_work_group_size: 1
    .uses_dynamic_stack: false
    .vgpr_count:     38
    .vgpr_spill_count: 0
    .wavefront_size: 64
  - .agpr_count:     0
    .args:
      - .offset:         0
        .size:           4
        .value_kind:     by_value
      - .offset:         4
        .size:           4
        .value_kind:     by_value
      - .address_space:  global
        .offset:         8
        .size:           8
        .value_kind:     global_buffer
      - .offset:         16
        .size:           8
        .value_kind:     by_value
      - .offset:         24
        .size:           4
        .value_kind:     by_value
      - .offset:         32
        .size:           8
        .value_kind:     by_value
      - .address_space:  global
        .offset:         40
        .size:           8
        .value_kind:     global_buffer
      - .offset:         48
        .size:           8
        .value_kind:     by_value
      - .address_space:  global
        .offset:         56
        .size:           8
        .value_kind:     global_buffer
      - .offset:         64
        .size:           8
        .value_kind:     by_value
      - .offset:         72
        .size:           4
        .value_kind:     by_value
      - .offset:         80
        .size:           8
        .value_kind:     by_value
    .group_segment_fixed_size: 10240
    .kernarg_segment_align: 8
    .kernarg_segment_size: 88
    .language:       OpenCL C
    .language_version:
      - 2
      - 0
    .max_flat_workgroup_size: 512
    .name:           _ZN9rocsolver6v33100L22larf_left_kernel_smallILi512EfiPfEEvT1_S3_T2_lS3_lPKT0_lS4_lS3_l
    .private_segment_fixed_size: 0
    .sgpr_count:     49
    .sgpr_spill_count: 0
    .symbol:         _ZN9rocsolver6v33100L22larf_left_kernel_smallILi512EfiPfEEvT1_S3_T2_lS3_lPKT0_lS4_lS3_l.kd
    .uniform_work_group_size: 1
    .uses_dynamic_stack: false
    .vgpr_count:     38
    .vgpr_spill_count: 0
    .wavefront_size: 64
  - .agpr_count:     0
    .args:
      - .offset:         0
        .size:           4
        .value_kind:     by_value
      - .offset:         4
        .size:           4
        .value_kind:     by_value
      - .address_space:  global
        .offset:         8
        .size:           8
        .value_kind:     global_buffer
      - .offset:         16
        .size:           8
        .value_kind:     by_value
      - .offset:         24
        .size:           4
        .value_kind:     by_value
      - .offset:         32
        .size:           8
        .value_kind:     by_value
      - .address_space:  global
        .offset:         40
        .size:           8
        .value_kind:     global_buffer
      - .offset:         48
        .size:           8
        .value_kind:     by_value
      - .address_space:  global
        .offset:         56
        .size:           8
        .value_kind:     global_buffer
      - .offset:         64
        .size:           8
        .value_kind:     by_value
      - .offset:         72
        .size:           4
        .value_kind:     by_value
      - .offset:         80
        .size:           8
        .value_kind:     by_value
    .group_segment_fixed_size: 12288
    .kernarg_segment_align: 8
    .kernarg_segment_size: 88
    .language:       OpenCL C
    .language_version:
      - 2
      - 0
    .max_flat_workgroup_size: 1024
    .name:           _ZN9rocsolver6v33100L22larf_left_kernel_smallILi1024EfiPfEEvT1_S3_T2_lS3_lPKT0_lS4_lS3_l
    .private_segment_fixed_size: 0
    .sgpr_count:     49
    .sgpr_spill_count: 0
    .symbol:         _ZN9rocsolver6v33100L22larf_left_kernel_smallILi1024EfiPfEEvT1_S3_T2_lS3_lPKT0_lS4_lS3_l.kd
    .uniform_work_group_size: 1
    .uses_dynamic_stack: false
    .vgpr_count:     42
    .vgpr_spill_count: 0
    .wavefront_size: 64
  - .agpr_count:     0
    .args:
      - .offset:         0
        .size:           4
        .value_kind:     by_value
      - .offset:         4
        .size:           4
        .value_kind:     by_value
      - .address_space:  global
        .offset:         8
        .size:           8
        .value_kind:     global_buffer
      - .offset:         16
        .size:           8
        .value_kind:     by_value
      - .offset:         24
        .size:           4
        .value_kind:     by_value
      - .offset:         32
        .size:           8
        .value_kind:     by_value
      - .address_space:  global
        .offset:         40
        .size:           8
        .value_kind:     global_buffer
      - .offset:         48
        .size:           8
        .value_kind:     by_value
      - .address_space:  global
        .offset:         56
        .size:           8
        .value_kind:     global_buffer
      - .offset:         64
        .size:           8
        .value_kind:     by_value
      - .offset:         72
        .size:           4
        .value_kind:     by_value
      - .offset:         80
        .size:           8
        .value_kind:     by_value
    .group_segment_fixed_size: 8196
    .kernarg_segment_align: 8
    .kernarg_segment_size: 88
    .language:       OpenCL C
    .language_version:
      - 2
      - 0
    .max_flat_workgroup_size: 64
    .name:           _ZN9rocsolver6v33100L23larf_right_kernel_smallILi64EfiPfEEvT1_S3_T2_lS3_lPKT0_lS4_lS3_l
    .private_segment_fixed_size: 0
    .sgpr_count:     38
    .sgpr_spill_count: 0
    .symbol:         _ZN9rocsolver6v33100L23larf_right_kernel_smallILi64EfiPfEEvT1_S3_T2_lS3_lPKT0_lS4_lS3_l.kd
    .uniform_work_group_size: 1
    .uses_dynamic_stack: false
    .vgpr_count:     33
    .vgpr_spill_count: 0
    .wavefront_size: 64
  - .agpr_count:     0
    .args:
      - .offset:         0
        .size:           4
        .value_kind:     by_value
      - .offset:         4
        .size:           4
        .value_kind:     by_value
      - .address_space:  global
        .offset:         8
        .size:           8
        .value_kind:     global_buffer
      - .offset:         16
        .size:           8
        .value_kind:     by_value
      - .offset:         24
        .size:           4
        .value_kind:     by_value
      - .offset:         32
        .size:           8
        .value_kind:     by_value
      - .address_space:  global
        .offset:         40
        .size:           8
        .value_kind:     global_buffer
      - .offset:         48
        .size:           8
        .value_kind:     by_value
      - .address_space:  global
        .offset:         56
        .size:           8
        .value_kind:     global_buffer
      - .offset:         64
        .size:           8
        .value_kind:     by_value
      - .offset:         72
        .size:           4
        .value_kind:     by_value
      - .offset:         80
        .size:           8
        .value_kind:     by_value
    .group_segment_fixed_size: 8200
    .kernarg_segment_align: 8
    .kernarg_segment_size: 88
    .language:       OpenCL C
    .language_version:
      - 2
      - 0
    .max_flat_workgroup_size: 128
    .name:           _ZN9rocsolver6v33100L23larf_right_kernel_smallILi128EfiPfEEvT1_S3_T2_lS3_lPKT0_lS4_lS3_l
    .private_segment_fixed_size: 0
    .sgpr_count:     38
    .sgpr_spill_count: 0
    .symbol:         _ZN9rocsolver6v33100L23larf_right_kernel_smallILi128EfiPfEEvT1_S3_T2_lS3_lPKT0_lS4_lS3_l.kd
    .uniform_work_group_size: 1
    .uses_dynamic_stack: false
    .vgpr_count:     33
    .vgpr_spill_count: 0
    .wavefront_size: 64
  - .agpr_count:     0
    .args:
      - .offset:         0
        .size:           4
        .value_kind:     by_value
      - .offset:         4
        .size:           4
        .value_kind:     by_value
      - .address_space:  global
        .offset:         8
        .size:           8
        .value_kind:     global_buffer
      - .offset:         16
        .size:           8
        .value_kind:     by_value
      - .offset:         24
        .size:           4
        .value_kind:     by_value
      - .offset:         32
        .size:           8
        .value_kind:     by_value
      - .address_space:  global
        .offset:         40
        .size:           8
        .value_kind:     global_buffer
      - .offset:         48
        .size:           8
        .value_kind:     by_value
      - .address_space:  global
        .offset:         56
        .size:           8
        .value_kind:     global_buffer
      - .offset:         64
        .size:           8
        .value_kind:     by_value
      - .offset:         72
        .size:           4
        .value_kind:     by_value
      - .offset:         80
        .size:           8
        .value_kind:     by_value
    .group_segment_fixed_size: 8208
    .kernarg_segment_align: 8
    .kernarg_segment_size: 88
    .language:       OpenCL C
    .language_version:
      - 2
      - 0
    .max_flat_workgroup_size: 256
    .name:           _ZN9rocsolver6v33100L23larf_right_kernel_smallILi256EfiPfEEvT1_S3_T2_lS3_lPKT0_lS4_lS3_l
    .private_segment_fixed_size: 0
    .sgpr_count:     38
    .sgpr_spill_count: 0
    .symbol:         _ZN9rocsolver6v33100L23larf_right_kernel_smallILi256EfiPfEEvT1_S3_T2_lS3_lPKT0_lS4_lS3_l.kd
    .uniform_work_group_size: 1
    .uses_dynamic_stack: false
    .vgpr_count:     33
    .vgpr_spill_count: 0
    .wavefront_size: 64
  - .agpr_count:     0
    .args:
      - .offset:         0
        .size:           4
        .value_kind:     by_value
      - .offset:         4
        .size:           4
        .value_kind:     by_value
      - .address_space:  global
        .offset:         8
        .size:           8
        .value_kind:     global_buffer
      - .offset:         16
        .size:           8
        .value_kind:     by_value
      - .offset:         24
        .size:           4
        .value_kind:     by_value
      - .offset:         32
        .size:           8
        .value_kind:     by_value
      - .address_space:  global
        .offset:         40
        .size:           8
        .value_kind:     global_buffer
      - .offset:         48
        .size:           8
        .value_kind:     by_value
      - .address_space:  global
        .offset:         56
        .size:           8
        .value_kind:     global_buffer
      - .offset:         64
        .size:           8
        .value_kind:     by_value
      - .offset:         72
        .size:           4
        .value_kind:     by_value
      - .offset:         80
        .size:           8
        .value_kind:     by_value
    .group_segment_fixed_size: 8224
    .kernarg_segment_align: 8
    .kernarg_segment_size: 88
    .language:       OpenCL C
    .language_version:
      - 2
      - 0
    .max_flat_workgroup_size: 512
    .name:           _ZN9rocsolver6v33100L23larf_right_kernel_smallILi512EfiPfEEvT1_S3_T2_lS3_lPKT0_lS4_lS3_l
    .private_segment_fixed_size: 0
    .sgpr_count:     38
    .sgpr_spill_count: 0
    .symbol:         _ZN9rocsolver6v33100L23larf_right_kernel_smallILi512EfiPfEEvT1_S3_T2_lS3_lPKT0_lS4_lS3_l.kd
    .uniform_work_group_size: 1
    .uses_dynamic_stack: false
    .vgpr_count:     33
    .vgpr_spill_count: 0
    .wavefront_size: 64
  - .agpr_count:     0
    .args:
      - .offset:         0
        .size:           4
        .value_kind:     by_value
      - .offset:         4
        .size:           4
        .value_kind:     by_value
      - .address_space:  global
        .offset:         8
        .size:           8
        .value_kind:     global_buffer
      - .offset:         16
        .size:           8
        .value_kind:     by_value
      - .offset:         24
        .size:           4
        .value_kind:     by_value
      - .offset:         32
        .size:           8
        .value_kind:     by_value
      - .address_space:  global
        .offset:         40
        .size:           8
        .value_kind:     global_buffer
      - .offset:         48
        .size:           8
        .value_kind:     by_value
      - .address_space:  global
        .offset:         56
        .size:           8
        .value_kind:     global_buffer
      - .offset:         64
        .size:           8
        .value_kind:     by_value
      - .offset:         72
        .size:           4
        .value_kind:     by_value
      - .offset:         80
        .size:           8
        .value_kind:     by_value
    .group_segment_fixed_size: 8256
    .kernarg_segment_align: 8
    .kernarg_segment_size: 88
    .language:       OpenCL C
    .language_version:
      - 2
      - 0
    .max_flat_workgroup_size: 1024
    .name:           _ZN9rocsolver6v33100L23larf_right_kernel_smallILi1024EfiPfEEvT1_S3_T2_lS3_lPKT0_lS4_lS3_l
    .private_segment_fixed_size: 0
    .sgpr_count:     38
    .sgpr_spill_count: 0
    .symbol:         _ZN9rocsolver6v33100L23larf_right_kernel_smallILi1024EfiPfEEvT1_S3_T2_lS3_lPKT0_lS4_lS3_l.kd
    .uniform_work_group_size: 1
    .uses_dynamic_stack: false
    .vgpr_count:     33
    .vgpr_spill_count: 0
    .wavefront_size: 64
  - .agpr_count:     0
    .args:
      - .offset:         0
        .size:           4
        .value_kind:     by_value
      - .offset:         4
        .size:           4
        .value_kind:     by_value
      - .address_space:  global
        .offset:         8
        .size:           8
        .value_kind:     global_buffer
      - .offset:         16
        .size:           8
        .value_kind:     by_value
      - .offset:         24
        .size:           4
        .value_kind:     by_value
      - .offset:         32
        .size:           8
        .value_kind:     by_value
      - .address_space:  global
        .offset:         40
        .size:           8
        .value_kind:     global_buffer
      - .offset:         48
        .size:           8
        .value_kind:     by_value
      - .address_space:  global
        .offset:         56
        .size:           8
        .value_kind:     global_buffer
      - .offset:         64
        .size:           8
        .value_kind:     by_value
      - .offset:         72
        .size:           4
        .value_kind:     by_value
      - .offset:         80
        .size:           8
        .value_kind:     by_value
    .group_segment_fixed_size: 8448
    .kernarg_segment_align: 8
    .kernarg_segment_size: 88
    .language:       OpenCL C
    .language_version:
      - 2
      - 0
    .max_flat_workgroup_size: 64
    .name:           _ZN9rocsolver6v33100L22larf_left_kernel_smallILi64EfiPKPfEEvT1_S5_T2_lS5_lPKT0_lS6_lS5_l
    .private_segment_fixed_size: 0
    .sgpr_count:     47
    .sgpr_spill_count: 0
    .symbol:         _ZN9rocsolver6v33100L22larf_left_kernel_smallILi64EfiPKPfEEvT1_S5_T2_lS5_lPKT0_lS6_lS5_l.kd
    .uniform_work_group_size: 1
    .uses_dynamic_stack: false
    .vgpr_count:     44
    .vgpr_spill_count: 0
    .wavefront_size: 64
  - .agpr_count:     0
    .args:
      - .offset:         0
        .size:           4
        .value_kind:     by_value
      - .offset:         4
        .size:           4
        .value_kind:     by_value
      - .address_space:  global
        .offset:         8
        .size:           8
        .value_kind:     global_buffer
      - .offset:         16
        .size:           8
        .value_kind:     by_value
      - .offset:         24
        .size:           4
        .value_kind:     by_value
      - .offset:         32
        .size:           8
        .value_kind:     by_value
      - .address_space:  global
        .offset:         40
        .size:           8
        .value_kind:     global_buffer
      - .offset:         48
        .size:           8
        .value_kind:     by_value
      - .address_space:  global
        .offset:         56
        .size:           8
        .value_kind:     global_buffer
      - .offset:         64
        .size:           8
        .value_kind:     by_value
      - .offset:         72
        .size:           4
        .value_kind:     by_value
      - .offset:         80
        .size:           8
        .value_kind:     by_value
    .group_segment_fixed_size: 8704
    .kernarg_segment_align: 8
    .kernarg_segment_size: 88
    .language:       OpenCL C
    .language_version:
      - 2
      - 0
    .max_flat_workgroup_size: 128
    .name:           _ZN9rocsolver6v33100L22larf_left_kernel_smallILi128EfiPKPfEEvT1_S5_T2_lS5_lPKT0_lS6_lS5_l
    .private_segment_fixed_size: 0
    .sgpr_count:     49
    .sgpr_spill_count: 0
    .symbol:         _ZN9rocsolver6v33100L22larf_left_kernel_smallILi128EfiPKPfEEvT1_S5_T2_lS5_lPKT0_lS6_lS5_l.kd
    .uniform_work_group_size: 1
    .uses_dynamic_stack: false
    .vgpr_count:     38
    .vgpr_spill_count: 0
    .wavefront_size: 64
  - .agpr_count:     0
    .args:
      - .offset:         0
        .size:           4
        .value_kind:     by_value
      - .offset:         4
        .size:           4
        .value_kind:     by_value
      - .address_space:  global
        .offset:         8
        .size:           8
        .value_kind:     global_buffer
      - .offset:         16
        .size:           8
        .value_kind:     by_value
      - .offset:         24
        .size:           4
        .value_kind:     by_value
      - .offset:         32
        .size:           8
        .value_kind:     by_value
      - .address_space:  global
        .offset:         40
        .size:           8
        .value_kind:     global_buffer
      - .offset:         48
        .size:           8
        .value_kind:     by_value
      - .address_space:  global
        .offset:         56
        .size:           8
        .value_kind:     global_buffer
      - .offset:         64
        .size:           8
        .value_kind:     by_value
      - .offset:         72
        .size:           4
        .value_kind:     by_value
      - .offset:         80
        .size:           8
        .value_kind:     by_value
    .group_segment_fixed_size: 9216
    .kernarg_segment_align: 8
    .kernarg_segment_size: 88
    .language:       OpenCL C
    .language_version:
      - 2
      - 0
    .max_flat_workgroup_size: 256
    .name:           _ZN9rocsolver6v33100L22larf_left_kernel_smallILi256EfiPKPfEEvT1_S5_T2_lS5_lPKT0_lS6_lS5_l
    .private_segment_fixed_size: 0
    .sgpr_count:     49
    .sgpr_spill_count: 0
    .symbol:         _ZN9rocsolver6v33100L22larf_left_kernel_smallILi256EfiPKPfEEvT1_S5_T2_lS5_lPKT0_lS6_lS5_l.kd
    .uniform_work_group_size: 1
    .uses_dynamic_stack: false
    .vgpr_count:     38
    .vgpr_spill_count: 0
    .wavefront_size: 64
  - .agpr_count:     0
    .args:
      - .offset:         0
        .size:           4
        .value_kind:     by_value
      - .offset:         4
        .size:           4
        .value_kind:     by_value
      - .address_space:  global
        .offset:         8
        .size:           8
        .value_kind:     global_buffer
      - .offset:         16
        .size:           8
        .value_kind:     by_value
      - .offset:         24
        .size:           4
        .value_kind:     by_value
      - .offset:         32
        .size:           8
        .value_kind:     by_value
      - .address_space:  global
        .offset:         40
        .size:           8
        .value_kind:     global_buffer
      - .offset:         48
        .size:           8
        .value_kind:     by_value
      - .address_space:  global
        .offset:         56
        .size:           8
        .value_kind:     global_buffer
      - .offset:         64
        .size:           8
        .value_kind:     by_value
      - .offset:         72
        .size:           4
        .value_kind:     by_value
      - .offset:         80
        .size:           8
        .value_kind:     by_value
    .group_segment_fixed_size: 10240
    .kernarg_segment_align: 8
    .kernarg_segment_size: 88
    .language:       OpenCL C
    .language_version:
      - 2
      - 0
    .max_flat_workgroup_size: 512
    .name:           _ZN9rocsolver6v33100L22larf_left_kernel_smallILi512EfiPKPfEEvT1_S5_T2_lS5_lPKT0_lS6_lS5_l
    .private_segment_fixed_size: 0
    .sgpr_count:     49
    .sgpr_spill_count: 0
    .symbol:         _ZN9rocsolver6v33100L22larf_left_kernel_smallILi512EfiPKPfEEvT1_S5_T2_lS5_lPKT0_lS6_lS5_l.kd
    .uniform_work_group_size: 1
    .uses_dynamic_stack: false
    .vgpr_count:     38
    .vgpr_spill_count: 0
    .wavefront_size: 64
  - .agpr_count:     0
    .args:
      - .offset:         0
        .size:           4
        .value_kind:     by_value
      - .offset:         4
        .size:           4
        .value_kind:     by_value
      - .address_space:  global
        .offset:         8
        .size:           8
        .value_kind:     global_buffer
      - .offset:         16
        .size:           8
        .value_kind:     by_value
      - .offset:         24
        .size:           4
        .value_kind:     by_value
      - .offset:         32
        .size:           8
        .value_kind:     by_value
      - .address_space:  global
        .offset:         40
        .size:           8
        .value_kind:     global_buffer
      - .offset:         48
        .size:           8
        .value_kind:     by_value
      - .address_space:  global
        .offset:         56
        .size:           8
        .value_kind:     global_buffer
      - .offset:         64
        .size:           8
        .value_kind:     by_value
      - .offset:         72
        .size:           4
        .value_kind:     by_value
      - .offset:         80
        .size:           8
        .value_kind:     by_value
    .group_segment_fixed_size: 12288
    .kernarg_segment_align: 8
    .kernarg_segment_size: 88
    .language:       OpenCL C
    .language_version:
      - 2
      - 0
    .max_flat_workgroup_size: 1024
    .name:           _ZN9rocsolver6v33100L22larf_left_kernel_smallILi1024EfiPKPfEEvT1_S5_T2_lS5_lPKT0_lS6_lS5_l
    .private_segment_fixed_size: 0
    .sgpr_count:     49
    .sgpr_spill_count: 0
    .symbol:         _ZN9rocsolver6v33100L22larf_left_kernel_smallILi1024EfiPKPfEEvT1_S5_T2_lS5_lPKT0_lS6_lS5_l.kd
    .uniform_work_group_size: 1
    .uses_dynamic_stack: false
    .vgpr_count:     42
    .vgpr_spill_count: 0
    .wavefront_size: 64
  - .agpr_count:     0
    .args:
      - .offset:         0
        .size:           4
        .value_kind:     by_value
      - .offset:         4
        .size:           4
        .value_kind:     by_value
      - .address_space:  global
        .offset:         8
        .size:           8
        .value_kind:     global_buffer
      - .offset:         16
        .size:           8
        .value_kind:     by_value
      - .offset:         24
        .size:           4
        .value_kind:     by_value
      - .offset:         32
        .size:           8
        .value_kind:     by_value
      - .address_space:  global
        .offset:         40
        .size:           8
        .value_kind:     global_buffer
      - .offset:         48
        .size:           8
        .value_kind:     by_value
      - .address_space:  global
        .offset:         56
        .size:           8
        .value_kind:     global_buffer
      - .offset:         64
        .size:           8
        .value_kind:     by_value
      - .offset:         72
        .size:           4
        .value_kind:     by_value
      - .offset:         80
        .size:           8
        .value_kind:     by_value
    .group_segment_fixed_size: 8196
    .kernarg_segment_align: 8
    .kernarg_segment_size: 88
    .language:       OpenCL C
    .language_version:
      - 2
      - 0
    .max_flat_workgroup_size: 64
    .name:           _ZN9rocsolver6v33100L23larf_right_kernel_smallILi64EfiPKPfEEvT1_S5_T2_lS5_lPKT0_lS6_lS5_l
    .private_segment_fixed_size: 0
    .sgpr_count:     38
    .sgpr_spill_count: 0
    .symbol:         _ZN9rocsolver6v33100L23larf_right_kernel_smallILi64EfiPKPfEEvT1_S5_T2_lS5_lPKT0_lS6_lS5_l.kd
    .uniform_work_group_size: 1
    .uses_dynamic_stack: false
    .vgpr_count:     33
    .vgpr_spill_count: 0
    .wavefront_size: 64
  - .agpr_count:     0
    .args:
      - .offset:         0
        .size:           4
        .value_kind:     by_value
      - .offset:         4
        .size:           4
        .value_kind:     by_value
      - .address_space:  global
        .offset:         8
        .size:           8
        .value_kind:     global_buffer
      - .offset:         16
        .size:           8
        .value_kind:     by_value
      - .offset:         24
        .size:           4
        .value_kind:     by_value
      - .offset:         32
        .size:           8
        .value_kind:     by_value
      - .address_space:  global
        .offset:         40
        .size:           8
        .value_kind:     global_buffer
      - .offset:         48
        .size:           8
        .value_kind:     by_value
      - .address_space:  global
        .offset:         56
        .size:           8
        .value_kind:     global_buffer
      - .offset:         64
        .size:           8
        .value_kind:     by_value
      - .offset:         72
        .size:           4
        .value_kind:     by_value
      - .offset:         80
        .size:           8
        .value_kind:     by_value
    .group_segment_fixed_size: 8200
    .kernarg_segment_align: 8
    .kernarg_segment_size: 88
    .language:       OpenCL C
    .language_version:
      - 2
      - 0
    .max_flat_workgroup_size: 128
    .name:           _ZN9rocsolver6v33100L23larf_right_kernel_smallILi128EfiPKPfEEvT1_S5_T2_lS5_lPKT0_lS6_lS5_l
    .private_segment_fixed_size: 0
    .sgpr_count:     38
    .sgpr_spill_count: 0
    .symbol:         _ZN9rocsolver6v33100L23larf_right_kernel_smallILi128EfiPKPfEEvT1_S5_T2_lS5_lPKT0_lS6_lS5_l.kd
    .uniform_work_group_size: 1
    .uses_dynamic_stack: false
    .vgpr_count:     33
    .vgpr_spill_count: 0
    .wavefront_size: 64
  - .agpr_count:     0
    .args:
      - .offset:         0
        .size:           4
        .value_kind:     by_value
      - .offset:         4
        .size:           4
        .value_kind:     by_value
      - .address_space:  global
        .offset:         8
        .size:           8
        .value_kind:     global_buffer
      - .offset:         16
        .size:           8
        .value_kind:     by_value
      - .offset:         24
        .size:           4
        .value_kind:     by_value
      - .offset:         32
        .size:           8
        .value_kind:     by_value
      - .address_space:  global
        .offset:         40
        .size:           8
        .value_kind:     global_buffer
      - .offset:         48
        .size:           8
        .value_kind:     by_value
      - .address_space:  global
        .offset:         56
        .size:           8
        .value_kind:     global_buffer
      - .offset:         64
        .size:           8
        .value_kind:     by_value
      - .offset:         72
        .size:           4
        .value_kind:     by_value
      - .offset:         80
        .size:           8
        .value_kind:     by_value
    .group_segment_fixed_size: 8208
    .kernarg_segment_align: 8
    .kernarg_segment_size: 88
    .language:       OpenCL C
    .language_version:
      - 2
      - 0
    .max_flat_workgroup_size: 256
    .name:           _ZN9rocsolver6v33100L23larf_right_kernel_smallILi256EfiPKPfEEvT1_S5_T2_lS5_lPKT0_lS6_lS5_l
    .private_segment_fixed_size: 0
    .sgpr_count:     38
    .sgpr_spill_count: 0
    .symbol:         _ZN9rocsolver6v33100L23larf_right_kernel_smallILi256EfiPKPfEEvT1_S5_T2_lS5_lPKT0_lS6_lS5_l.kd
    .uniform_work_group_size: 1
    .uses_dynamic_stack: false
    .vgpr_count:     33
    .vgpr_spill_count: 0
    .wavefront_size: 64
  - .agpr_count:     0
    .args:
      - .offset:         0
        .size:           4
        .value_kind:     by_value
      - .offset:         4
        .size:           4
        .value_kind:     by_value
      - .address_space:  global
        .offset:         8
        .size:           8
        .value_kind:     global_buffer
      - .offset:         16
        .size:           8
        .value_kind:     by_value
      - .offset:         24
        .size:           4
        .value_kind:     by_value
      - .offset:         32
        .size:           8
        .value_kind:     by_value
      - .address_space:  global
        .offset:         40
        .size:           8
        .value_kind:     global_buffer
      - .offset:         48
        .size:           8
        .value_kind:     by_value
      - .address_space:  global
        .offset:         56
        .size:           8
        .value_kind:     global_buffer
      - .offset:         64
        .size:           8
        .value_kind:     by_value
      - .offset:         72
        .size:           4
        .value_kind:     by_value
      - .offset:         80
        .size:           8
        .value_kind:     by_value
    .group_segment_fixed_size: 8224
    .kernarg_segment_align: 8
    .kernarg_segment_size: 88
    .language:       OpenCL C
    .language_version:
      - 2
      - 0
    .max_flat_workgroup_size: 512
    .name:           _ZN9rocsolver6v33100L23larf_right_kernel_smallILi512EfiPKPfEEvT1_S5_T2_lS5_lPKT0_lS6_lS5_l
    .private_segment_fixed_size: 0
    .sgpr_count:     38
    .sgpr_spill_count: 0
    .symbol:         _ZN9rocsolver6v33100L23larf_right_kernel_smallILi512EfiPKPfEEvT1_S5_T2_lS5_lPKT0_lS6_lS5_l.kd
    .uniform_work_group_size: 1
    .uses_dynamic_stack: false
    .vgpr_count:     33
    .vgpr_spill_count: 0
    .wavefront_size: 64
  - .agpr_count:     0
    .args:
      - .offset:         0
        .size:           4
        .value_kind:     by_value
      - .offset:         4
        .size:           4
        .value_kind:     by_value
      - .address_space:  global
        .offset:         8
        .size:           8
        .value_kind:     global_buffer
      - .offset:         16
        .size:           8
        .value_kind:     by_value
      - .offset:         24
        .size:           4
        .value_kind:     by_value
      - .offset:         32
        .size:           8
        .value_kind:     by_value
      - .address_space:  global
        .offset:         40
        .size:           8
        .value_kind:     global_buffer
      - .offset:         48
        .size:           8
        .value_kind:     by_value
      - .address_space:  global
        .offset:         56
        .size:           8
        .value_kind:     global_buffer
      - .offset:         64
        .size:           8
        .value_kind:     by_value
      - .offset:         72
        .size:           4
        .value_kind:     by_value
      - .offset:         80
        .size:           8
        .value_kind:     by_value
    .group_segment_fixed_size: 8256
    .kernarg_segment_align: 8
    .kernarg_segment_size: 88
    .language:       OpenCL C
    .language_version:
      - 2
      - 0
    .max_flat_workgroup_size: 1024
    .name:           _ZN9rocsolver6v33100L23larf_right_kernel_smallILi1024EfiPKPfEEvT1_S5_T2_lS5_lPKT0_lS6_lS5_l
    .private_segment_fixed_size: 0
    .sgpr_count:     38
    .sgpr_spill_count: 0
    .symbol:         _ZN9rocsolver6v33100L23larf_right_kernel_smallILi1024EfiPKPfEEvT1_S5_T2_lS5_lPKT0_lS6_lS5_l.kd
    .uniform_work_group_size: 1
    .uses_dynamic_stack: false
    .vgpr_count:     33
    .vgpr_spill_count: 0
    .wavefront_size: 64
  - .agpr_count:     0
    .args:
      - .offset:         0
        .size:           8
        .value_kind:     by_value
      - .offset:         8
        .size:           8
        .value_kind:     by_value
      - .address_space:  global
        .offset:         16
        .size:           8
        .value_kind:     global_buffer
      - .offset:         24
        .size:           8
        .value_kind:     by_value
      - .offset:         32
        .size:           8
        .value_kind:     by_value
      - .offset:         40
        .size:           8
        .value_kind:     by_value
      - .address_space:  global
        .offset:         48
        .size:           8
        .value_kind:     global_buffer
      - .offset:         56
        .size:           8
        .value_kind:     by_value
      - .address_space:  global
        .offset:         64
        .size:           8
        .value_kind:     global_buffer
      - .offset:         72
        .size:           8
        .value_kind:     by_value
      - .offset:         80
        .size:           8
        .value_kind:     by_value
      - .offset:         88
        .size:           8
        .value_kind:     by_value
    .group_segment_fixed_size: 8448
    .kernarg_segment_align: 8
    .kernarg_segment_size: 96
    .language:       OpenCL C
    .language_version:
      - 2
      - 0
    .max_flat_workgroup_size: 64
    .name:           _ZN9rocsolver6v33100L22larf_left_kernel_smallILi64EflPfEEvT1_S3_T2_lS3_lPKT0_lS4_lS3_l
    .private_segment_fixed_size: 0
    .sgpr_count:     44
    .sgpr_spill_count: 0
    .symbol:         _ZN9rocsolver6v33100L22larf_left_kernel_smallILi64EflPfEEvT1_S3_T2_lS3_lPKT0_lS4_lS3_l.kd
    .uniform_work_group_size: 1
    .uses_dynamic_stack: false
    .vgpr_count:     42
    .vgpr_spill_count: 0
    .wavefront_size: 64
  - .agpr_count:     0
    .args:
      - .offset:         0
        .size:           8
        .value_kind:     by_value
      - .offset:         8
        .size:           8
        .value_kind:     by_value
      - .address_space:  global
        .offset:         16
        .size:           8
        .value_kind:     global_buffer
      - .offset:         24
        .size:           8
        .value_kind:     by_value
      - .offset:         32
        .size:           8
        .value_kind:     by_value
      - .offset:         40
        .size:           8
        .value_kind:     by_value
      - .address_space:  global
        .offset:         48
        .size:           8
        .value_kind:     global_buffer
      - .offset:         56
        .size:           8
        .value_kind:     by_value
      - .address_space:  global
        .offset:         64
        .size:           8
        .value_kind:     global_buffer
      - .offset:         72
        .size:           8
        .value_kind:     by_value
      - .offset:         80
        .size:           8
        .value_kind:     by_value
      - .offset:         88
        .size:           8
        .value_kind:     by_value
    .group_segment_fixed_size: 8704
    .kernarg_segment_align: 8
    .kernarg_segment_size: 96
    .language:       OpenCL C
    .language_version:
      - 2
      - 0
    .max_flat_workgroup_size: 128
    .name:           _ZN9rocsolver6v33100L22larf_left_kernel_smallILi128EflPfEEvT1_S3_T2_lS3_lPKT0_lS4_lS3_l
    .private_segment_fixed_size: 0
    .sgpr_count:     48
    .sgpr_spill_count: 0
    .symbol:         _ZN9rocsolver6v33100L22larf_left_kernel_smallILi128EflPfEEvT1_S3_T2_lS3_lPKT0_lS4_lS3_l.kd
    .uniform_work_group_size: 1
    .uses_dynamic_stack: false
    .vgpr_count:     38
    .vgpr_spill_count: 0
    .wavefront_size: 64
  - .agpr_count:     0
    .args:
      - .offset:         0
        .size:           8
        .value_kind:     by_value
      - .offset:         8
        .size:           8
        .value_kind:     by_value
      - .address_space:  global
        .offset:         16
        .size:           8
        .value_kind:     global_buffer
      - .offset:         24
        .size:           8
        .value_kind:     by_value
      - .offset:         32
        .size:           8
        .value_kind:     by_value
      - .offset:         40
        .size:           8
        .value_kind:     by_value
      - .address_space:  global
        .offset:         48
        .size:           8
        .value_kind:     global_buffer
      - .offset:         56
        .size:           8
        .value_kind:     by_value
      - .address_space:  global
        .offset:         64
        .size:           8
        .value_kind:     global_buffer
      - .offset:         72
        .size:           8
        .value_kind:     by_value
      - .offset:         80
        .size:           8
        .value_kind:     by_value
      - .offset:         88
        .size:           8
        .value_kind:     by_value
    .group_segment_fixed_size: 9216
    .kernarg_segment_align: 8
    .kernarg_segment_size: 96
    .language:       OpenCL C
    .language_version:
      - 2
      - 0
    .max_flat_workgroup_size: 256
    .name:           _ZN9rocsolver6v33100L22larf_left_kernel_smallILi256EflPfEEvT1_S3_T2_lS3_lPKT0_lS4_lS3_l
    .private_segment_fixed_size: 0
    .sgpr_count:     48
    .sgpr_spill_count: 0
    .symbol:         _ZN9rocsolver6v33100L22larf_left_kernel_smallILi256EflPfEEvT1_S3_T2_lS3_lPKT0_lS4_lS3_l.kd
    .uniform_work_group_size: 1
    .uses_dynamic_stack: false
    .vgpr_count:     38
    .vgpr_spill_count: 0
    .wavefront_size: 64
  - .agpr_count:     0
    .args:
      - .offset:         0
        .size:           8
        .value_kind:     by_value
      - .offset:         8
        .size:           8
        .value_kind:     by_value
      - .address_space:  global
        .offset:         16
        .size:           8
        .value_kind:     global_buffer
      - .offset:         24
        .size:           8
        .value_kind:     by_value
      - .offset:         32
        .size:           8
        .value_kind:     by_value
      - .offset:         40
        .size:           8
        .value_kind:     by_value
      - .address_space:  global
        .offset:         48
        .size:           8
        .value_kind:     global_buffer
      - .offset:         56
        .size:           8
        .value_kind:     by_value
      - .address_space:  global
        .offset:         64
        .size:           8
        .value_kind:     global_buffer
      - .offset:         72
        .size:           8
        .value_kind:     by_value
      - .offset:         80
        .size:           8
        .value_kind:     by_value
      - .offset:         88
        .size:           8
        .value_kind:     by_value
    .group_segment_fixed_size: 10240
    .kernarg_segment_align: 8
    .kernarg_segment_size: 96
    .language:       OpenCL C
    .language_version:
      - 2
      - 0
    .max_flat_workgroup_size: 512
    .name:           _ZN9rocsolver6v33100L22larf_left_kernel_smallILi512EflPfEEvT1_S3_T2_lS3_lPKT0_lS4_lS3_l
    .private_segment_fixed_size: 0
    .sgpr_count:     48
    .sgpr_spill_count: 0
    .symbol:         _ZN9rocsolver6v33100L22larf_left_kernel_smallILi512EflPfEEvT1_S3_T2_lS3_lPKT0_lS4_lS3_l.kd
    .uniform_work_group_size: 1
    .uses_dynamic_stack: false
    .vgpr_count:     38
    .vgpr_spill_count: 0
    .wavefront_size: 64
  - .agpr_count:     0
    .args:
      - .offset:         0
        .size:           8
        .value_kind:     by_value
      - .offset:         8
        .size:           8
        .value_kind:     by_value
      - .address_space:  global
        .offset:         16
        .size:           8
        .value_kind:     global_buffer
      - .offset:         24
        .size:           8
        .value_kind:     by_value
      - .offset:         32
        .size:           8
        .value_kind:     by_value
      - .offset:         40
        .size:           8
        .value_kind:     by_value
      - .address_space:  global
        .offset:         48
        .size:           8
        .value_kind:     global_buffer
      - .offset:         56
        .size:           8
        .value_kind:     by_value
      - .address_space:  global
        .offset:         64
        .size:           8
        .value_kind:     global_buffer
      - .offset:         72
        .size:           8
        .value_kind:     by_value
      - .offset:         80
        .size:           8
        .value_kind:     by_value
      - .offset:         88
        .size:           8
        .value_kind:     by_value
    .group_segment_fixed_size: 12288
    .kernarg_segment_align: 8
    .kernarg_segment_size: 96
    .language:       OpenCL C
    .language_version:
      - 2
      - 0
    .max_flat_workgroup_size: 1024
    .name:           _ZN9rocsolver6v33100L22larf_left_kernel_smallILi1024EflPfEEvT1_S3_T2_lS3_lPKT0_lS4_lS3_l
    .private_segment_fixed_size: 0
    .sgpr_count:     48
    .sgpr_spill_count: 0
    .symbol:         _ZN9rocsolver6v33100L22larf_left_kernel_smallILi1024EflPfEEvT1_S3_T2_lS3_lPKT0_lS4_lS3_l.kd
    .uniform_work_group_size: 1
    .uses_dynamic_stack: false
    .vgpr_count:     42
    .vgpr_spill_count: 0
    .wavefront_size: 64
  - .agpr_count:     0
    .args:
      - .offset:         0
        .size:           8
        .value_kind:     by_value
      - .offset:         8
        .size:           8
        .value_kind:     by_value
      - .address_space:  global
        .offset:         16
        .size:           8
        .value_kind:     global_buffer
      - .offset:         24
        .size:           8
        .value_kind:     by_value
      - .offset:         32
        .size:           8
        .value_kind:     by_value
      - .offset:         40
        .size:           8
        .value_kind:     by_value
      - .address_space:  global
        .offset:         48
        .size:           8
        .value_kind:     global_buffer
      - .offset:         56
        .size:           8
        .value_kind:     by_value
      - .address_space:  global
        .offset:         64
        .size:           8
        .value_kind:     global_buffer
      - .offset:         72
        .size:           8
        .value_kind:     by_value
      - .offset:         80
        .size:           8
        .value_kind:     by_value
      - .offset:         88
        .size:           8
        .value_kind:     by_value
    .group_segment_fixed_size: 8196
    .kernarg_segment_align: 8
    .kernarg_segment_size: 96
    .language:       OpenCL C
    .language_version:
      - 2
      - 0
    .max_flat_workgroup_size: 64
    .name:           _ZN9rocsolver6v33100L23larf_right_kernel_smallILi64EflPfEEvT1_S3_T2_lS3_lPKT0_lS4_lS3_l
    .private_segment_fixed_size: 0
    .sgpr_count:     42
    .sgpr_spill_count: 0
    .symbol:         _ZN9rocsolver6v33100L23larf_right_kernel_smallILi64EflPfEEvT1_S3_T2_lS3_lPKT0_lS4_lS3_l.kd
    .uniform_work_group_size: 1
    .uses_dynamic_stack: false
    .vgpr_count:     21
    .vgpr_spill_count: 0
    .wavefront_size: 64
  - .agpr_count:     0
    .args:
      - .offset:         0
        .size:           8
        .value_kind:     by_value
      - .offset:         8
        .size:           8
        .value_kind:     by_value
      - .address_space:  global
        .offset:         16
        .size:           8
        .value_kind:     global_buffer
      - .offset:         24
        .size:           8
        .value_kind:     by_value
      - .offset:         32
        .size:           8
        .value_kind:     by_value
      - .offset:         40
        .size:           8
        .value_kind:     by_value
      - .address_space:  global
        .offset:         48
        .size:           8
        .value_kind:     global_buffer
      - .offset:         56
        .size:           8
        .value_kind:     by_value
      - .address_space:  global
        .offset:         64
        .size:           8
        .value_kind:     global_buffer
      - .offset:         72
        .size:           8
        .value_kind:     by_value
      - .offset:         80
        .size:           8
        .value_kind:     by_value
      - .offset:         88
        .size:           8
        .value_kind:     by_value
    .group_segment_fixed_size: 8200
    .kernarg_segment_align: 8
    .kernarg_segment_size: 96
    .language:       OpenCL C
    .language_version:
      - 2
      - 0
    .max_flat_workgroup_size: 128
    .name:           _ZN9rocsolver6v33100L23larf_right_kernel_smallILi128EflPfEEvT1_S3_T2_lS3_lPKT0_lS4_lS3_l
    .private_segment_fixed_size: 0
    .sgpr_count:     42
    .sgpr_spill_count: 0
    .symbol:         _ZN9rocsolver6v33100L23larf_right_kernel_smallILi128EflPfEEvT1_S3_T2_lS3_lPKT0_lS4_lS3_l.kd
    .uniform_work_group_size: 1
    .uses_dynamic_stack: false
    .vgpr_count:     21
    .vgpr_spill_count: 0
    .wavefront_size: 64
  - .agpr_count:     0
    .args:
      - .offset:         0
        .size:           8
        .value_kind:     by_value
      - .offset:         8
        .size:           8
        .value_kind:     by_value
      - .address_space:  global
        .offset:         16
        .size:           8
        .value_kind:     global_buffer
      - .offset:         24
        .size:           8
        .value_kind:     by_value
      - .offset:         32
        .size:           8
        .value_kind:     by_value
      - .offset:         40
        .size:           8
        .value_kind:     by_value
      - .address_space:  global
        .offset:         48
        .size:           8
        .value_kind:     global_buffer
      - .offset:         56
        .size:           8
        .value_kind:     by_value
      - .address_space:  global
        .offset:         64
        .size:           8
        .value_kind:     global_buffer
      - .offset:         72
        .size:           8
        .value_kind:     by_value
      - .offset:         80
        .size:           8
        .value_kind:     by_value
      - .offset:         88
        .size:           8
        .value_kind:     by_value
    .group_segment_fixed_size: 8208
    .kernarg_segment_align: 8
    .kernarg_segment_size: 96
    .language:       OpenCL C
    .language_version:
      - 2
      - 0
    .max_flat_workgroup_size: 256
    .name:           _ZN9rocsolver6v33100L23larf_right_kernel_smallILi256EflPfEEvT1_S3_T2_lS3_lPKT0_lS4_lS3_l
    .private_segment_fixed_size: 0
    .sgpr_count:     42
    .sgpr_spill_count: 0
    .symbol:         _ZN9rocsolver6v33100L23larf_right_kernel_smallILi256EflPfEEvT1_S3_T2_lS3_lPKT0_lS4_lS3_l.kd
    .uniform_work_group_size: 1
    .uses_dynamic_stack: false
    .vgpr_count:     22
    .vgpr_spill_count: 0
    .wavefront_size: 64
  - .agpr_count:     0
    .args:
      - .offset:         0
        .size:           8
        .value_kind:     by_value
      - .offset:         8
        .size:           8
        .value_kind:     by_value
      - .address_space:  global
        .offset:         16
        .size:           8
        .value_kind:     global_buffer
      - .offset:         24
        .size:           8
        .value_kind:     by_value
      - .offset:         32
        .size:           8
        .value_kind:     by_value
      - .offset:         40
        .size:           8
        .value_kind:     by_value
      - .address_space:  global
        .offset:         48
        .size:           8
        .value_kind:     global_buffer
      - .offset:         56
        .size:           8
        .value_kind:     by_value
      - .address_space:  global
        .offset:         64
        .size:           8
        .value_kind:     global_buffer
      - .offset:         72
        .size:           8
        .value_kind:     by_value
      - .offset:         80
        .size:           8
        .value_kind:     by_value
      - .offset:         88
        .size:           8
        .value_kind:     by_value
    .group_segment_fixed_size: 8224
    .kernarg_segment_align: 8
    .kernarg_segment_size: 96
    .language:       OpenCL C
    .language_version:
      - 2
      - 0
    .max_flat_workgroup_size: 512
    .name:           _ZN9rocsolver6v33100L23larf_right_kernel_smallILi512EflPfEEvT1_S3_T2_lS3_lPKT0_lS4_lS3_l
    .private_segment_fixed_size: 0
    .sgpr_count:     42
    .sgpr_spill_count: 0
    .symbol:         _ZN9rocsolver6v33100L23larf_right_kernel_smallILi512EflPfEEvT1_S3_T2_lS3_lPKT0_lS4_lS3_l.kd
    .uniform_work_group_size: 1
    .uses_dynamic_stack: false
    .vgpr_count:     26
    .vgpr_spill_count: 0
    .wavefront_size: 64
  - .agpr_count:     0
    .args:
      - .offset:         0
        .size:           8
        .value_kind:     by_value
      - .offset:         8
        .size:           8
        .value_kind:     by_value
      - .address_space:  global
        .offset:         16
        .size:           8
        .value_kind:     global_buffer
      - .offset:         24
        .size:           8
        .value_kind:     by_value
      - .offset:         32
        .size:           8
        .value_kind:     by_value
      - .offset:         40
        .size:           8
        .value_kind:     by_value
      - .address_space:  global
        .offset:         48
        .size:           8
        .value_kind:     global_buffer
      - .offset:         56
        .size:           8
        .value_kind:     by_value
      - .address_space:  global
        .offset:         64
        .size:           8
        .value_kind:     global_buffer
      - .offset:         72
        .size:           8
        .value_kind:     by_value
      - .offset:         80
        .size:           8
        .value_kind:     by_value
      - .offset:         88
        .size:           8
        .value_kind:     by_value
    .group_segment_fixed_size: 8256
    .kernarg_segment_align: 8
    .kernarg_segment_size: 96
    .language:       OpenCL C
    .language_version:
      - 2
      - 0
    .max_flat_workgroup_size: 1024
    .name:           _ZN9rocsolver6v33100L23larf_right_kernel_smallILi1024EflPfEEvT1_S3_T2_lS3_lPKT0_lS4_lS3_l
    .private_segment_fixed_size: 0
    .sgpr_count:     42
    .sgpr_spill_count: 0
    .symbol:         _ZN9rocsolver6v33100L23larf_right_kernel_smallILi1024EflPfEEvT1_S3_T2_lS3_lPKT0_lS4_lS3_l.kd
    .uniform_work_group_size: 1
    .uses_dynamic_stack: false
    .vgpr_count:     30
    .vgpr_spill_count: 0
    .wavefront_size: 64
  - .agpr_count:     0
    .args:
      - .offset:         0
        .size:           8
        .value_kind:     by_value
      - .offset:         8
        .size:           8
        .value_kind:     by_value
      - .address_space:  global
        .offset:         16
        .size:           8
        .value_kind:     global_buffer
      - .offset:         24
        .size:           8
        .value_kind:     by_value
      - .offset:         32
        .size:           8
        .value_kind:     by_value
      - .offset:         40
        .size:           8
        .value_kind:     by_value
      - .address_space:  global
        .offset:         48
        .size:           8
        .value_kind:     global_buffer
      - .offset:         56
        .size:           8
        .value_kind:     by_value
      - .address_space:  global
        .offset:         64
        .size:           8
        .value_kind:     global_buffer
      - .offset:         72
        .size:           8
        .value_kind:     by_value
      - .offset:         80
        .size:           8
        .value_kind:     by_value
      - .offset:         88
        .size:           8
        .value_kind:     by_value
    .group_segment_fixed_size: 8448
    .kernarg_segment_align: 8
    .kernarg_segment_size: 96
    .language:       OpenCL C
    .language_version:
      - 2
      - 0
    .max_flat_workgroup_size: 64
    .name:           _ZN9rocsolver6v33100L22larf_left_kernel_smallILi64EflPKPfEEvT1_S5_T2_lS5_lPKT0_lS6_lS5_l
    .private_segment_fixed_size: 0
    .sgpr_count:     44
    .sgpr_spill_count: 0
    .symbol:         _ZN9rocsolver6v33100L22larf_left_kernel_smallILi64EflPKPfEEvT1_S5_T2_lS5_lPKT0_lS6_lS5_l.kd
    .uniform_work_group_size: 1
    .uses_dynamic_stack: false
    .vgpr_count:     42
    .vgpr_spill_count: 0
    .wavefront_size: 64
  - .agpr_count:     0
    .args:
      - .offset:         0
        .size:           8
        .value_kind:     by_value
      - .offset:         8
        .size:           8
        .value_kind:     by_value
      - .address_space:  global
        .offset:         16
        .size:           8
        .value_kind:     global_buffer
      - .offset:         24
        .size:           8
        .value_kind:     by_value
      - .offset:         32
        .size:           8
        .value_kind:     by_value
      - .offset:         40
        .size:           8
        .value_kind:     by_value
      - .address_space:  global
        .offset:         48
        .size:           8
        .value_kind:     global_buffer
      - .offset:         56
        .size:           8
        .value_kind:     by_value
      - .address_space:  global
        .offset:         64
        .size:           8
        .value_kind:     global_buffer
      - .offset:         72
        .size:           8
        .value_kind:     by_value
      - .offset:         80
        .size:           8
        .value_kind:     by_value
      - .offset:         88
        .size:           8
        .value_kind:     by_value
    .group_segment_fixed_size: 8704
    .kernarg_segment_align: 8
    .kernarg_segment_size: 96
    .language:       OpenCL C
    .language_version:
      - 2
      - 0
    .max_flat_workgroup_size: 128
    .name:           _ZN9rocsolver6v33100L22larf_left_kernel_smallILi128EflPKPfEEvT1_S5_T2_lS5_lPKT0_lS6_lS5_l
    .private_segment_fixed_size: 0
    .sgpr_count:     48
    .sgpr_spill_count: 0
    .symbol:         _ZN9rocsolver6v33100L22larf_left_kernel_smallILi128EflPKPfEEvT1_S5_T2_lS5_lPKT0_lS6_lS5_l.kd
    .uniform_work_group_size: 1
    .uses_dynamic_stack: false
    .vgpr_count:     38
    .vgpr_spill_count: 0
    .wavefront_size: 64
  - .agpr_count:     0
    .args:
      - .offset:         0
        .size:           8
        .value_kind:     by_value
      - .offset:         8
        .size:           8
        .value_kind:     by_value
      - .address_space:  global
        .offset:         16
        .size:           8
        .value_kind:     global_buffer
      - .offset:         24
        .size:           8
        .value_kind:     by_value
      - .offset:         32
        .size:           8
        .value_kind:     by_value
      - .offset:         40
        .size:           8
        .value_kind:     by_value
      - .address_space:  global
        .offset:         48
        .size:           8
        .value_kind:     global_buffer
      - .offset:         56
        .size:           8
        .value_kind:     by_value
      - .address_space:  global
        .offset:         64
        .size:           8
        .value_kind:     global_buffer
      - .offset:         72
        .size:           8
        .value_kind:     by_value
      - .offset:         80
        .size:           8
        .value_kind:     by_value
      - .offset:         88
        .size:           8
        .value_kind:     by_value
    .group_segment_fixed_size: 9216
    .kernarg_segment_align: 8
    .kernarg_segment_size: 96
    .language:       OpenCL C
    .language_version:
      - 2
      - 0
    .max_flat_workgroup_size: 256
    .name:           _ZN9rocsolver6v33100L22larf_left_kernel_smallILi256EflPKPfEEvT1_S5_T2_lS5_lPKT0_lS6_lS5_l
    .private_segment_fixed_size: 0
    .sgpr_count:     48
    .sgpr_spill_count: 0
    .symbol:         _ZN9rocsolver6v33100L22larf_left_kernel_smallILi256EflPKPfEEvT1_S5_T2_lS5_lPKT0_lS6_lS5_l.kd
    .uniform_work_group_size: 1
    .uses_dynamic_stack: false
    .vgpr_count:     38
    .vgpr_spill_count: 0
    .wavefront_size: 64
  - .agpr_count:     0
    .args:
      - .offset:         0
        .size:           8
        .value_kind:     by_value
      - .offset:         8
        .size:           8
        .value_kind:     by_value
      - .address_space:  global
        .offset:         16
        .size:           8
        .value_kind:     global_buffer
      - .offset:         24
        .size:           8
        .value_kind:     by_value
      - .offset:         32
        .size:           8
        .value_kind:     by_value
      - .offset:         40
        .size:           8
        .value_kind:     by_value
      - .address_space:  global
        .offset:         48
        .size:           8
        .value_kind:     global_buffer
      - .offset:         56
        .size:           8
        .value_kind:     by_value
      - .address_space:  global
        .offset:         64
        .size:           8
        .value_kind:     global_buffer
      - .offset:         72
        .size:           8
        .value_kind:     by_value
      - .offset:         80
        .size:           8
        .value_kind:     by_value
      - .offset:         88
        .size:           8
        .value_kind:     by_value
    .group_segment_fixed_size: 10240
    .kernarg_segment_align: 8
    .kernarg_segment_size: 96
    .language:       OpenCL C
    .language_version:
      - 2
      - 0
    .max_flat_workgroup_size: 512
    .name:           _ZN9rocsolver6v33100L22larf_left_kernel_smallILi512EflPKPfEEvT1_S5_T2_lS5_lPKT0_lS6_lS5_l
    .private_segment_fixed_size: 0
    .sgpr_count:     48
    .sgpr_spill_count: 0
    .symbol:         _ZN9rocsolver6v33100L22larf_left_kernel_smallILi512EflPKPfEEvT1_S5_T2_lS5_lPKT0_lS6_lS5_l.kd
    .uniform_work_group_size: 1
    .uses_dynamic_stack: false
    .vgpr_count:     38
    .vgpr_spill_count: 0
    .wavefront_size: 64
  - .agpr_count:     0
    .args:
      - .offset:         0
        .size:           8
        .value_kind:     by_value
      - .offset:         8
        .size:           8
        .value_kind:     by_value
      - .address_space:  global
        .offset:         16
        .size:           8
        .value_kind:     global_buffer
      - .offset:         24
        .size:           8
        .value_kind:     by_value
      - .offset:         32
        .size:           8
        .value_kind:     by_value
      - .offset:         40
        .size:           8
        .value_kind:     by_value
      - .address_space:  global
        .offset:         48
        .size:           8
        .value_kind:     global_buffer
      - .offset:         56
        .size:           8
        .value_kind:     by_value
      - .address_space:  global
        .offset:         64
        .size:           8
        .value_kind:     global_buffer
      - .offset:         72
        .size:           8
        .value_kind:     by_value
      - .offset:         80
        .size:           8
        .value_kind:     by_value
      - .offset:         88
        .size:           8
        .value_kind:     by_value
    .group_segment_fixed_size: 12288
    .kernarg_segment_align: 8
    .kernarg_segment_size: 96
    .language:       OpenCL C
    .language_version:
      - 2
      - 0
    .max_flat_workgroup_size: 1024
    .name:           _ZN9rocsolver6v33100L22larf_left_kernel_smallILi1024EflPKPfEEvT1_S5_T2_lS5_lPKT0_lS6_lS5_l
    .private_segment_fixed_size: 0
    .sgpr_count:     48
    .sgpr_spill_count: 0
    .symbol:         _ZN9rocsolver6v33100L22larf_left_kernel_smallILi1024EflPKPfEEvT1_S5_T2_lS5_lPKT0_lS6_lS5_l.kd
    .uniform_work_group_size: 1
    .uses_dynamic_stack: false
    .vgpr_count:     42
    .vgpr_spill_count: 0
    .wavefront_size: 64
  - .agpr_count:     0
    .args:
      - .offset:         0
        .size:           8
        .value_kind:     by_value
      - .offset:         8
        .size:           8
        .value_kind:     by_value
      - .address_space:  global
        .offset:         16
        .size:           8
        .value_kind:     global_buffer
      - .offset:         24
        .size:           8
        .value_kind:     by_value
      - .offset:         32
        .size:           8
        .value_kind:     by_value
      - .offset:         40
        .size:           8
        .value_kind:     by_value
      - .address_space:  global
        .offset:         48
        .size:           8
        .value_kind:     global_buffer
      - .offset:         56
        .size:           8
        .value_kind:     by_value
      - .address_space:  global
        .offset:         64
        .size:           8
        .value_kind:     global_buffer
      - .offset:         72
        .size:           8
        .value_kind:     by_value
      - .offset:         80
        .size:           8
        .value_kind:     by_value
      - .offset:         88
        .size:           8
        .value_kind:     by_value
    .group_segment_fixed_size: 8196
    .kernarg_segment_align: 8
    .kernarg_segment_size: 96
    .language:       OpenCL C
    .language_version:
      - 2
      - 0
    .max_flat_workgroup_size: 64
    .name:           _ZN9rocsolver6v33100L23larf_right_kernel_smallILi64EflPKPfEEvT1_S5_T2_lS5_lPKT0_lS6_lS5_l
    .private_segment_fixed_size: 0
    .sgpr_count:     43
    .sgpr_spill_count: 0
    .symbol:         _ZN9rocsolver6v33100L23larf_right_kernel_smallILi64EflPKPfEEvT1_S5_T2_lS5_lPKT0_lS6_lS5_l.kd
    .uniform_work_group_size: 1
    .uses_dynamic_stack: false
    .vgpr_count:     21
    .vgpr_spill_count: 0
    .wavefront_size: 64
  - .agpr_count:     0
    .args:
      - .offset:         0
        .size:           8
        .value_kind:     by_value
      - .offset:         8
        .size:           8
        .value_kind:     by_value
      - .address_space:  global
        .offset:         16
        .size:           8
        .value_kind:     global_buffer
      - .offset:         24
        .size:           8
        .value_kind:     by_value
      - .offset:         32
        .size:           8
        .value_kind:     by_value
      - .offset:         40
        .size:           8
        .value_kind:     by_value
      - .address_space:  global
        .offset:         48
        .size:           8
        .value_kind:     global_buffer
      - .offset:         56
        .size:           8
        .value_kind:     by_value
      - .address_space:  global
        .offset:         64
        .size:           8
        .value_kind:     global_buffer
      - .offset:         72
        .size:           8
        .value_kind:     by_value
      - .offset:         80
        .size:           8
        .value_kind:     by_value
      - .offset:         88
        .size:           8
        .value_kind:     by_value
    .group_segment_fixed_size: 8200
    .kernarg_segment_align: 8
    .kernarg_segment_size: 96
    .language:       OpenCL C
    .language_version:
      - 2
      - 0
    .max_flat_workgroup_size: 128
    .name:           _ZN9rocsolver6v33100L23larf_right_kernel_smallILi128EflPKPfEEvT1_S5_T2_lS5_lPKT0_lS6_lS5_l
    .private_segment_fixed_size: 0
    .sgpr_count:     43
    .sgpr_spill_count: 0
    .symbol:         _ZN9rocsolver6v33100L23larf_right_kernel_smallILi128EflPKPfEEvT1_S5_T2_lS5_lPKT0_lS6_lS5_l.kd
    .uniform_work_group_size: 1
    .uses_dynamic_stack: false
    .vgpr_count:     21
    .vgpr_spill_count: 0
    .wavefront_size: 64
  - .agpr_count:     0
    .args:
      - .offset:         0
        .size:           8
        .value_kind:     by_value
      - .offset:         8
        .size:           8
        .value_kind:     by_value
      - .address_space:  global
        .offset:         16
        .size:           8
        .value_kind:     global_buffer
      - .offset:         24
        .size:           8
        .value_kind:     by_value
      - .offset:         32
        .size:           8
        .value_kind:     by_value
      - .offset:         40
        .size:           8
        .value_kind:     by_value
      - .address_space:  global
        .offset:         48
        .size:           8
        .value_kind:     global_buffer
      - .offset:         56
        .size:           8
        .value_kind:     by_value
      - .address_space:  global
        .offset:         64
        .size:           8
        .value_kind:     global_buffer
      - .offset:         72
        .size:           8
        .value_kind:     by_value
      - .offset:         80
        .size:           8
        .value_kind:     by_value
      - .offset:         88
        .size:           8
        .value_kind:     by_value
    .group_segment_fixed_size: 8208
    .kernarg_segment_align: 8
    .kernarg_segment_size: 96
    .language:       OpenCL C
    .language_version:
      - 2
      - 0
    .max_flat_workgroup_size: 256
    .name:           _ZN9rocsolver6v33100L23larf_right_kernel_smallILi256EflPKPfEEvT1_S5_T2_lS5_lPKT0_lS6_lS5_l
    .private_segment_fixed_size: 0
    .sgpr_count:     43
    .sgpr_spill_count: 0
    .symbol:         _ZN9rocsolver6v33100L23larf_right_kernel_smallILi256EflPKPfEEvT1_S5_T2_lS5_lPKT0_lS6_lS5_l.kd
    .uniform_work_group_size: 1
    .uses_dynamic_stack: false
    .vgpr_count:     22
    .vgpr_spill_count: 0
    .wavefront_size: 64
  - .agpr_count:     0
    .args:
      - .offset:         0
        .size:           8
        .value_kind:     by_value
      - .offset:         8
        .size:           8
        .value_kind:     by_value
      - .address_space:  global
        .offset:         16
        .size:           8
        .value_kind:     global_buffer
      - .offset:         24
        .size:           8
        .value_kind:     by_value
      - .offset:         32
        .size:           8
        .value_kind:     by_value
      - .offset:         40
        .size:           8
        .value_kind:     by_value
      - .address_space:  global
        .offset:         48
        .size:           8
        .value_kind:     global_buffer
      - .offset:         56
        .size:           8
        .value_kind:     by_value
      - .address_space:  global
        .offset:         64
        .size:           8
        .value_kind:     global_buffer
      - .offset:         72
        .size:           8
        .value_kind:     by_value
      - .offset:         80
        .size:           8
        .value_kind:     by_value
      - .offset:         88
        .size:           8
        .value_kind:     by_value
    .group_segment_fixed_size: 8224
    .kernarg_segment_align: 8
    .kernarg_segment_size: 96
    .language:       OpenCL C
    .language_version:
      - 2
      - 0
    .max_flat_workgroup_size: 512
    .name:           _ZN9rocsolver6v33100L23larf_right_kernel_smallILi512EflPKPfEEvT1_S5_T2_lS5_lPKT0_lS6_lS5_l
    .private_segment_fixed_size: 0
    .sgpr_count:     43
    .sgpr_spill_count: 0
    .symbol:         _ZN9rocsolver6v33100L23larf_right_kernel_smallILi512EflPKPfEEvT1_S5_T2_lS5_lPKT0_lS6_lS5_l.kd
    .uniform_work_group_size: 1
    .uses_dynamic_stack: false
    .vgpr_count:     26
    .vgpr_spill_count: 0
    .wavefront_size: 64
  - .agpr_count:     0
    .args:
      - .offset:         0
        .size:           8
        .value_kind:     by_value
      - .offset:         8
        .size:           8
        .value_kind:     by_value
      - .address_space:  global
        .offset:         16
        .size:           8
        .value_kind:     global_buffer
      - .offset:         24
        .size:           8
        .value_kind:     by_value
      - .offset:         32
        .size:           8
        .value_kind:     by_value
      - .offset:         40
        .size:           8
        .value_kind:     by_value
      - .address_space:  global
        .offset:         48
        .size:           8
        .value_kind:     global_buffer
      - .offset:         56
        .size:           8
        .value_kind:     by_value
      - .address_space:  global
        .offset:         64
        .size:           8
        .value_kind:     global_buffer
      - .offset:         72
        .size:           8
        .value_kind:     by_value
      - .offset:         80
        .size:           8
        .value_kind:     by_value
      - .offset:         88
        .size:           8
        .value_kind:     by_value
    .group_segment_fixed_size: 8256
    .kernarg_segment_align: 8
    .kernarg_segment_size: 96
    .language:       OpenCL C
    .language_version:
      - 2
      - 0
    .max_flat_workgroup_size: 1024
    .name:           _ZN9rocsolver6v33100L23larf_right_kernel_smallILi1024EflPKPfEEvT1_S5_T2_lS5_lPKT0_lS6_lS5_l
    .private_segment_fixed_size: 0
    .sgpr_count:     43
    .sgpr_spill_count: 0
    .symbol:         _ZN9rocsolver6v33100L23larf_right_kernel_smallILi1024EflPKPfEEvT1_S5_T2_lS5_lPKT0_lS6_lS5_l.kd
    .uniform_work_group_size: 1
    .uses_dynamic_stack: false
    .vgpr_count:     30
    .vgpr_spill_count: 0
    .wavefront_size: 64
amdhsa.target:   amdgcn-amd-amdhsa--gfx90a
amdhsa.version:
  - 1
  - 2
...

	.end_amdgpu_metadata
